;; amdgpu-corpus repo=ROCm/aiter kind=harvested arch=n/a opt=n/a

/root/src/amdgpu-assembly/repos/ROCm__aiter/hsa/gfx950/fmoe/fmoe_fp8_blockscale_g1u1_novs_subGU_256.co:	file format elf64-amdgpu

Disassembly of section .text:

0000000000002b00 <_ZN5aiter39fmoe_fp8_blockscale_g1u1_novs_subGU_256E>:
	s_and_b32 s1, s1, 0xffff                                   // 000000002B00: 8601FF01 0000FFFF
	s_load_dwordx2 s[8:9], s[0:1], 0x0                         // 000000002B08: C0060200 00000000
	s_load_dwordx2 s[20:21], s[0:1], 0x10                      // 000000002B10: C0060500 00000010
	s_load_dwordx2 s[24:25], s[0:1], 0x20                      // 000000002B18: C0060600 00000020
	s_load_dwordx2 s[50:51], s[0:1], 0x30                      // 000000002B20: C0060C80 00000030
	s_load_dwordx2 s[12:13], s[0:1], 0x40                      // 000000002B28: C0060300 00000040
	s_load_dwordx2 s[28:29], s[0:1], 0x50                      // 000000002B30: C0060700 00000050
	s_load_dwordx2 s[32:33], s[0:1], 0x60                      // 000000002B38: C0060800 00000060
	s_load_dwordx2 s[16:17], s[0:1], 0x70                      // 000000002B40: C0060400 00000070
	s_load_dwordx2 s[36:37], s[0:1], 0x80                      // 000000002B48: C0060900 00000080
	s_load_dwordx2 s[44:45], s[0:1], 0x90                      // 000000002B50: C0060B00 00000090
	s_load_dwordx2 s[40:41], s[0:1], 0xa0                      // 000000002B58: C0060A00 000000A0
	s_load_dwordx2 s[46:47], s[0:1], 0xb0                      // 000000002B60: C0060B80 000000B0
	s_load_dword s64, s[0:1], 0xc0                             // 000000002B68: C0021000 000000C0
	s_load_dword s65, s[0:1], 0xd0                             // 000000002B70: C0021040 000000D0
	s_load_dword s66, s[0:1], 0xe0                             // 000000002B78: C0021080 000000E0
	s_load_dword s67, s[0:1], 0xf0                             // 000000002B80: C00210C0 000000F0
	s_load_dword s68, s[0:1], 0x100                            // 000000002B88: C0021100 00000100
	s_load_dword s69, s[0:1], 0x110                            // 000000002B90: C0021140 00000110
	s_load_dword s70, s[0:1], 0x120                            // 000000002B98: C0021180 00000120
	s_load_dword s71, s[0:1], 0x130                            // 000000002BA0: C00211C0 00000130
	s_load_dword s72, s[0:1], 0x140                            // 000000002BA8: C0021200 00000140
	s_load_dword s73, s[0:1], 0x150                            // 000000002BB0: C0021240 00000150
	s_load_dword s74, s[0:1], 0x160                            // 000000002BB8: C0021280 00000160
	s_load_dword s75, s[0:1], 0x170                            // 000000002BC0: C00212C0 00000170
	s_load_dword s76, s[0:1], 0x180                            // 000000002BC8: C0021300 00000180
	v_lshrrev_b32_e32 v1, 10, v0                               // 000000002BD0: 2002008A
	v_lshrrev_b32_e32 v2, 10, v1                               // 000000002BD4: 2004028A
	v_and_b32_e32 v2, 0x3ff, v2                                // 000000002BD8: 260404FF 000003FF
	v_and_b32_e32 v1, 0x3ff, v1                                // 000000002BE0: 260202FF 000003FF
	v_and_b32_e32 v0, 0x3ff, v0                                // 000000002BE8: 260000FF 000003FF
	v_lshrrev_b32_e32 v3, 6, v0                                // 000000002BF0: 20060086
	v_and_b32_e32 v0, 63, v0                                   // 000000002BF4: 260000BF
	s_mov_b32 s2, s2                                           // 000000002BF8: BE820002
	s_mov_b32 s3, s3                                           // 000000002BFC: BE830003
	s_mov_b32 s4, s4                                           // 000000002C00: BE840004
	v_readfirstlane_b32 s7, v3                                 // 000000002C04: 7E0E0503
	s_waitcnt lgkmcnt(0)                                       // 000000002C08: BF8CC07F
	s_and_b32 s51, s51, 0xffff                                 // 000000002C0C: 8633FF33 0000FFFF
	s_load_dword s50, s[50:51], 0x0                            // 000000002C14: C0020C99 00000000
	s_and_b32 s45, s45, 0xffff                                 // 000000002C1C: 862DFF2D 0000FFFF
	s_and_b32 s47, s47, 0xffff                                 // 000000002C24: 862FFF2F 0000FFFF
	s_and_b32 s9, s9, 0xffff                                   // 000000002C2C: 8609FF09 0000FFFF
	s_mul_i32 s60, s66, s68                                    // 000000002C34: 923C4442
	s_mul_i32 s61, s66, 4                                      // 000000002C38: 923D8442
	s_mov_b32 s22, s60                                         // 000000002C3C: BE96003C
	s_mov_b32 s26, 0x80000000                                  // 000000002C40: BE9A00FF 80000000
	s_mov_b32 s14, 0x80000000                                  // 000000002C48: BE8E00FF 80000000
	s_mov_b32 s42, 0x80000000                                  // 000000002C50: BEAA00FF 80000000
	s_mov_b32 s30, 0x80000000                                  // 000000002C58: BE9E00FF 80000000
	s_mov_b32 s34, 0x80000000                                  // 000000002C60: BEA200FF 80000000
	s_mov_b32 s38, 0x80000000                                  // 000000002C68: BEA600FF 80000000
	s_mov_b32 s18, 0x80000000                                  // 000000002C70: BE9200FF 80000000
	s_mov_b32 s23, 0x20000                                     // 000000002C78: BE9700FF 00020000
	s_mov_b32 s27, 0x20000                                     // 000000002C80: BE9B00FF 00020000
	s_mov_b32 s15, 0x20000                                     // 000000002C88: BE8F00FF 00020000
	s_mov_b32 s43, 0x20000                                     // 000000002C90: BEAB00FF 00020000
	s_mov_b32 s31, 0x20000                                     // 000000002C98: BE9F00FF 00020000
	s_mov_b32 s35, 0x20000                                     // 000000002CA0: BEA300FF 00020000
	s_mov_b32 s39, 0x20000                                     // 000000002CA8: BEA700FF 00020000
	s_mov_b32 s19, 0x20000                                     // 000000002CB0: BE9300FF 00020000
	s_and_b32 s21, s21, 0xffff                                 // 000000002CB8: 8615FF15 0000FFFF
	s_and_b32 s25, s25, 0xffff                                 // 000000002CC0: 8619FF19 0000FFFF
	s_and_b32 s13, s13, 0xffff                                 // 000000002CC8: 860DFF0D 0000FFFF
	s_and_b32 s41, s41, 0xffff                                 // 000000002CD0: 8629FF29 0000FFFF
	s_and_b32 s29, s29, 0xffff                                 // 000000002CD8: 861DFF1D 0000FFFF
	s_and_b32 s33, s33, 0xffff                                 // 000000002CE0: 8621FF21 0000FFFF
	s_and_b32 s37, s37, 0xffff                                 // 000000002CE8: 8625FF25 0000FFFF
	s_and_b32 s17, s17, 0xffff                                 // 000000002CF0: 8611FF11 0000FFFF
	s_or_b32 s21, s21, 0x40000                                 // 000000002CF8: 8715FF15 00040000
	s_or_b32 s25, s25, 0x40000                                 // 000000002D00: 8719FF19 00040000
	s_or_b32 s13, s13, 0x40000                                 // 000000002D08: 870DFF0D 00040000
	s_or_b32 s41, s41, 0x40000                                 // 000000002D10: 8729FF29 00040000
	s_or_b32 s29, s29, 0x40000                                 // 000000002D18: 871DFF1D 00040000
	s_or_b32 s33, s33, 0x40000                                 // 000000002D20: 8721FF21 00040000
	s_or_b32 s37, s37, 0x40000                                 // 000000002D28: 8725FF25 00040000
	s_or_b32 s17, s17, 0x40000                                 // 000000002D30: 8711FF11 00040000
	v_accvgpr_write_b32 a127, 0                                // 000000002D38: D3D9407F 18000080
	v_mov_b32_e32 v255, 0                                      // 000000002D40: 7FFE0280
	s_waitcnt lgkmcnt(0)                                       // 000000002D44: BF8CC07F
	s_mul_i32 s60, s3, 32                                      // 000000002D48: 923CA003
	s_cmp_lt_i32 s60, s50                                      // 000000002D4C: BF04323C
	s_cbranch_scc0 label_1D44                                  // 000000002D50: BF841CAF
	s_mov_b32 s80, 0                                           // 000000002D54: BED00080
	s_mov_b32 s81, s64                                         // 000000002D58: BED10040
	s_mul_i32 s60, s3, 4                                       // 000000002D5C: 923C8403
	s_add_u32 s46, s60, s46                                    // 000000002D60: 802E2E3C
	s_addc_u32 s47, 0, s47                                     // 000000002D64: 822F2F80
	s_load_dword s5, s[46:47], 0x0                             // 000000002D68: C0020157 00000000
	s_mul_i32 s60, s3, 32                                      // 000000002D70: 923CA003
	s_mul_i32 s60, 4, s60                                      // 000000002D74: 923C3C84
	v_and_b32_e32 v56, 15, v0                                  // 000000002D78: 2670008F
	v_lshlrev_b32_e32 v56, 2, v56                              // 000000002D7C: 24707082
	v_add_u32_e32 v56, s60, v56                                // 000000002D80: 6870703C
	v_mov_b32_e32 v57, 0                                       // 000000002D84: 7E720280
	global_load_dword v7, v56, s[44:45]                        // 000000002D88: DC508000 072C0038
	v_add_u32_e32 v56, 64, v56                                 // 000000002D90: 687070C0
	global_load_dword v8, v56, s[44:45]                        // 000000002D94: DC508000 082C0038
	s_mul_i32 s60, s3, 32                                      // 000000002D9C: 923CA003
	s_add_u32 s60, s7, s60                                     // 000000002DA0: 803C3C07
	s_mul_i32 s60, 4, s60                                      // 000000002DA4: 923C3C84
	s_add_u32 s44, s60, s44                                    // 000000002DA8: 802C2C3C
	s_addc_u32 s45, 0, s45                                     // 000000002DAC: 822D2D80
	s_load_dword s82, s[44:45], 0x0                            // 000000002DB0: C0021496 00000000
	s_load_dword s83, s[44:45], 0x10                           // 000000002DB8: C00214D6 00000010
	s_load_dword s84, s[44:45], 0x20                           // 000000002DC0: C0021516 00000020
	s_load_dword s85, s[44:45], 0x30                           // 000000002DC8: C0021556 00000030
	s_load_dword s86, s[44:45], 0x40                           // 000000002DD0: C0021596 00000040
	s_load_dword s87, s[44:45], 0x50                           // 000000002DD8: C00215D6 00000050
	s_load_dword s88, s[44:45], 0x60                           // 000000002DE0: C0021616 00000060
	s_load_dword s89, s[44:45], 0x70                           // 000000002DE8: C0021656 00000070
	s_waitcnt lgkmcnt(0)                                       // 000000002DF0: BF8CC07F
	v_lshlrev_b32_e32 v56, 2, v0                               // 000000002DF4: 24700082
	s_and_b32 s82, s82, 0xffffff                               // 000000002DF8: 8652FF52 00FFFFFF
	s_mul_i32 s60, s82, s68                                    // 000000002E00: 923C4452
	v_add_u32_e64 v36, v56, s60                                // 000000002E04: D1340024 00007938
	s_and_b32 s83, s83, 0xffffff                               // 000000002E0C: 8653FF53 00FFFFFF
	s_mul_i32 s60, s83, s68                                    // 000000002E14: 923C4453
	v_add_u32_e64 v37, v56, s60                                // 000000002E18: D1340025 00007938
	s_and_b32 s84, s84, 0xffffff                               // 000000002E20: 8654FF54 00FFFFFF
	s_mul_i32 s60, s84, s68                                    // 000000002E28: 923C4454
	v_add_u32_e64 v38, v56, s60                                // 000000002E2C: D1340026 00007938
	s_and_b32 s85, s85, 0xffffff                               // 000000002E34: 8655FF55 00FFFFFF
	s_mul_i32 s60, s85, s68                                    // 000000002E3C: 923C4455
	v_add_u32_e64 v39, v56, s60                                // 000000002E40: D1340027 00007938
	s_and_b32 s86, s86, 0xffffff                               // 000000002E48: 8656FF56 00FFFFFF
	s_mul_i32 s60, s86, s68                                    // 000000002E50: 923C4456
	v_add_u32_e64 v40, v56, s60                                // 000000002E54: D1340028 00007938
	s_and_b32 s87, s87, 0xffffff                               // 000000002E5C: 8657FF57 00FFFFFF
	s_mul_i32 s60, s87, s68                                    // 000000002E64: 923C4457
	v_add_u32_e64 v41, v56, s60                                // 000000002E68: D1340029 00007938
	s_and_b32 s88, s88, 0xffffff                               // 000000002E70: 8658FF58 00FFFFFF
	s_mul_i32 s60, s88, s68                                    // 000000002E78: 923C4458
	v_add_u32_e64 v42, v56, s60                                // 000000002E7C: D134002A 00007938
	s_and_b32 s89, s89, 0xffffff                               // 000000002E84: 8659FF59 00FFFFFF
	s_mul_i32 s60, s89, s68                                    // 000000002E8C: 923C4459
	v_add_u32_e64 v43, v56, s60                                // 000000002E90: D134002B 00007938
	v_lshlrev_b32_e32 v56, 2, v0                               // 000000002E98: 24700082
	s_mul_i32 s60, s82, s71                                    // 000000002E9C: 923C4752
	v_add_u32_e64 v80, v56, s60                                // 000000002EA0: D1340050 00007938
	v_mov_b32_e32 v81, 0                                       // 000000002EA8: 7EA20280
	s_mul_i32 s60, s83, s71                                    // 000000002EAC: 923C4753
	v_add_u32_e64 v82, v56, s60                                // 000000002EB0: D1340052 00007938
	v_mov_b32_e32 v83, 0                                       // 000000002EB8: 7EA60280
	s_mul_i32 s60, s84, s71                                    // 000000002EBC: 923C4754
	v_add_u32_e64 v84, v56, s60                                // 000000002EC0: D1340054 00007938
	v_mov_b32_e32 v85, 0                                       // 000000002EC8: 7EAA0280
	s_mul_i32 s60, s85, s71                                    // 000000002ECC: 923C4755
	v_add_u32_e64 v86, v56, s60                                // 000000002ED0: D1340056 00007938
	v_mov_b32_e32 v87, 0                                       // 000000002ED8: 7EAE0280
	s_mul_i32 s60, s86, s71                                    // 000000002EDC: 923C4756
	v_add_u32_e64 v88, v56, s60                                // 000000002EE0: D1340058 00007938
	v_mov_b32_e32 v89, 0                                       // 000000002EE8: 7EB20280
	s_mul_i32 s60, s87, s71                                    // 000000002EEC: 923C4757
	v_add_u32_e64 v90, v56, s60                                // 000000002EF0: D134005A 00007938
	v_mov_b32_e32 v91, 0                                       // 000000002EF8: 7EB60280
	s_mul_i32 s60, s88, s71                                    // 000000002EFC: 923C4758
	v_add_u32_e64 v92, v56, s60                                // 000000002F00: D134005C 00007938
	v_mov_b32_e32 v93, 0                                       // 000000002F08: 7EBA0280
	s_mul_i32 s60, s89, s71                                    // 000000002F0C: 923C4759
	v_add_u32_e64 v94, v56, s60                                // 000000002F10: D134005E 00007938
	v_mov_b32_e32 v95, 0                                       // 000000002F18: 7EBE0280
	s_mul_i32 s60, s7, 0x820                                   // 000000002F1C: 923CFF07 00000820
	s_add_u32 s50, 0, s60                                      // 000000002F24: 80323C80
	s_add_u32 s51, 0x2480, s50                                 // 000000002F28: 803332FF 00002480
	v_lshrrev_b32_e32 v56, 4, v0                               // 000000002F30: 20700084
	v_lshlrev_b32_e32 v57, 2, v56                              // 000000002F34: 24727082
	v_and_b32_e32 v56, 15, v0                                  // 000000002F38: 2670008F
	v_lshrrev_b32_e32 v58, 2, v56                              // 000000002F3C: 20747082
	v_lshlrev_b32_e32 v58, 6, v58                              // 000000002F40: 24747486
	v_add_u32_e32 v57, v58, v57                                // 000000002F44: 6872733A
	v_and_b32_e32 v56, 3, v0                                   // 000000002F48: 26700083
	v_mul_i32_i24_e32 v58, 0x208, v56                          // 000000002F4C: 0C7470FF 00000208
	v_add_u32_e32 v57, v58, v57                                // 000000002F54: 6872733A
	v_lshlrev_b32_e32 v2, 2, v57                               // 000000002F58: 24047282
	s_mul_i32 s60, s2, 0x100                                   // 000000002F5C: 923CFF02 00000100
	s_mul_i32 s60, s60, s69                                    // 000000002F64: 923C453C
	s_mul_i32 s61, s5, s72                                     // 000000002F68: 923D4805
	s_add_u32 s60, s61, s60                                    // 000000002F6C: 803C3C3D
	s_add_u32 s24, s60, s24                                    // 000000002F70: 8018183C
	s_addc_u32 s25, 0, s25                                     // 000000002F74: 82191980
	s_mul_i32 s60, s7, 16                                      // 000000002F78: 923C9007
	s_mul_i32 s60, s60, s69                                    // 000000002F7C: 923C453C
	v_lshlrev_b32_e32 v44, 4, v0                               // 000000002F80: 24580084
	v_add_u32_e32 v44, s60, v44                                // 000000002F84: 6858583C
	s_mul_i32 s60, 64, s69                                     // 000000002F88: 923C45C0
	v_add_u32_e32 v45, s60, v44                                // 000000002F8C: 685A583C
	v_add_u32_e32 v46, s60, v45                                // 000000002F90: 685C5A3C
	v_add_u32_e32 v47, s60, v46                                // 000000002F94: 685E5C3C
	s_mov_b32 s92, s24                                         // 000000002F98: BEDC0018
	s_mov_b32 s93, s25                                         // 000000002F9C: BEDD0019
	s_mov_b32 s94, s26                                         // 000000002FA0: BEDE001A
	s_mov_b32 s95, s27                                         // 000000002FA4: BEDF001B
	s_mul_i32 s60, s69, s65                                    // 000000002FA8: 923C4145
	s_add_u32 s92, s60, s92                                    // 000000002FAC: 805C5C3C
	s_addc_u32 s93, 0, s93                                     // 000000002FB0: 825D5D80
	s_mul_i32 s60, s2, 0x1000                                  // 000000002FB4: 923CFF02 00001000
	s_mul_i32 s61, s5, s73                                     // 000000002FBC: 923D4905
	s_add_u32 s60, s61, s60                                    // 000000002FC0: 803C3C3D
	s_add_u32 s12, s60, s12                                    // 000000002FC4: 800C0C3C
	s_addc_u32 s13, 0, s13                                     // 000000002FC8: 820D0D80
	s_mul_i32 s60, s7, 16                                      // 000000002FCC: 923C9007
	s_mul_i32 s60, s60, s70                                    // 000000002FD0: 923C463C
	v_lshlrev_b32_e32 v48, 4, v0                               // 000000002FD4: 24600084
	v_add_u32_e32 v48, s60, v48                                // 000000002FD8: 6860603C
	s_mul_i32 s60, 64, s70                                     // 000000002FDC: 923C46C0
	v_add_u32_e32 v49, s60, v48                                // 000000002FE0: 6862603C
	v_add_u32_e32 v50, s60, v49                                // 000000002FE4: 6864623C
	v_add_u32_e32 v51, s60, v50                                // 000000002FE8: 6866643C
	s_mul_i32 s60, s70, 0x100                                  // 000000002FEC: 923CFF46 00000100
	s_mov_b32 s78, 0x400                                       // 000000002FF4: BECE00FF 00000400
	s_mul_i32 s61, s78, 3                                      // 000000002FFC: 923D834E
	s_sub_u32 s56, s60, s61                                    // 000000003000: 80B83D3C
	s_mul_i32 s60, s3, 32                                      // 000000003004: 923CA003
	s_mul_i32 s60, 4, s60                                      // 000000003008: 923C3C84
	s_add_u32 s40, s60, s40                                    // 00000000300C: 8028283C
	s_addc_u32 s41, 0, s41                                     // 000000003010: 82292980
	v_and_b32_e32 v56, 15, v0                                  // 000000003014: 2670008F
	v_lshlrev_b32_e32 v9, 2, v56                               // 000000003018: 24127082
	v_add_u32_e32 v10, 64, v9                                  // 00000000301C: 681412C0
	s_lshr_b32 s60, s64, 7                                     // 000000003020: 8F3C8740
	s_mul_i32 s61, s60, 4                                      // 000000003024: 923D843C
	v_and_b32_e64 v11, v0, 1                                   // 000000003028: D113000B 00010300
	v_mul_i32_i24_e64 v11, v11, s61                            // 000000003030: D106000B 00007B0B
	v_and_b32_e64 v56, v0, 3                                   // 000000003038: D1130038 00010700
	v_lshrrev_b32_e32 v56, 1, v56                              // 000000003040: 20707081
	v_mul_i32_i24_e32 v56, 4, v56                              // 000000003044: 0C707084
	v_add_u32_e32 v11, v11, v56                                // 000000003048: 6816710B
	s_lshr_b32 s60, s65, 7                                     // 00000000304C: 8F3C8741
	s_mul_i32 s60, s60, s61                                    // 000000003050: 923C3D3C
	v_add_u32_e64 v13, v11, s60                                // 000000003054: D134000D 0000790B
	s_mov_b32 s4, 8                                            // 00000000305C: BE840088
	s_mul_i32 s60, s2, 2                                       // 000000003060: 923C8202
	s_mul_i32 s60, s60, s61                                    // 000000003064: 923C3D3C
	s_mul_i32 s61, s5, s74                                     // 000000003068: 923D4A05
	s_add_u32 s61, s61, s60                                    // 00000000306C: 803D3C3D
	s_add_u32 s32, s61, s32                                    // 000000003070: 8020203D
	s_addc_u32 s33, 0, s33                                     // 000000003074: 82212180
	s_lshr_b32 s60, s65, 7                                     // 000000003078: 8F3C8741
	s_mul_i32 s61, s60, 4                                      // 00000000307C: 923D843C
	s_mul_i32 s60, s2, 2                                       // 000000003080: 923C8202
	s_mul_i32 s60, s60, 4                                      // 000000003084: 923C843C
	v_and_b32_e64 v6, v0, 1                                    // 000000003088: D1130006 00010300
	v_mul_i32_i24_e64 v6, v6, s61                              // 000000003090: D1060006 00007B06
	v_and_b32_e64 v56, v0, 3                                   // 000000003098: D1130038 00010700
	v_lshrrev_b32_e32 v56, 1, v56                              // 0000000030A0: 20707081
	v_mul_i32_i24_e32 v56, 4, v56                              // 0000000030A4: 0C707084
	v_add_i32 v6, v6, v56                                      // 0000000030A8: D29C0006 00027106
	v_add_i32 v6, v6, s60                                      // 0000000030B0: D29C0006 00007906
	s_mul_i32 s60, s5, s75                                     // 0000000030B8: 923C4B05
	s_add_u32 s16, s60, s16                                    // 0000000030BC: 8010103C
	s_addc_u32 s17, 0, s17                                     // 0000000030C0: 82111180
	s_mov_b32 s57, 0x100                                       // 0000000030C4: BEB900FF 00000100
	s_mov_b32 s58, 0x1000                                      // 0000000030CC: BEBA00FF 00001000
	s_mul_i32 s79, 2, s61                                      // 0000000030D4: 924F3D82
	s_mov_b32 s59, 0                                           // 0000000030D8: BEBB0080
	s_mov_b32 s90, s58                                         // 0000000030DC: BEDA003A
	s_mov_b32 s52, 0x7060302                                   // 0000000030E0: BEB400FF 07060302
	s_mov_b32 s53, 0x400                                       // 0000000030E8: BEB500FF 00000400
	s_mov_b32 s54, 0x40100                                     // 0000000030F0: BEB600FF 00040100
	s_mov_b32 s55, 0x4020100                                   // 0000000030F8: BEB700FF 04020100
	s_mov_b32 s6, 0x3fb8aa3b                                   // 000000003100: BE8600FF 3FB8AA3B
	s_mov_b32 s77, 0xbd92220c                                  // 000000003108: BECD00FF BD92220C
	s_mov_b32 m0, s50                                          // 000000003110: BEFC0032
	v_mov_b32_e32 v1, 0xbfcc4231                               // 000000003114: 7E0202FF BFCC4231
	v_mov_b32_e32 v53, 0xffff0000                              // 00000000311C: 7E6A02FF FFFF0000
	v_mov_b32_e32 v54, 0x7fff0000                              // 000000003124: 7E6C02FF 7FFF0000
	v_mov_b32_e32 v55, 0x7fff                                  // 00000000312C: 7E6E02FF 00007FFF
	s_waitcnt vmcnt(0) expcnt(0) lgkmcnt(0)                    // 000000003134: BF8C0000
	v_and_b32_e32 v7, 0xffffff, v7                             // 000000003138: 260E0EFF 00FFFFFF
	v_and_b32_e32 v8, 0xffffff, v8                             // 000000003140: 261010FF 00FFFFFF
	v_lshlrev_b32_e32 v7, 2, v7                                // 000000003148: 240E0E82
	v_lshlrev_b32_e32 v8, 2, v8                                // 00000000314C: 24101082
	s_lshr_b32 s60, s7, 1                                      // 000000003150: 8F3C8107
	s_lshl_b32 s3, s66, 2                                      // 000000003154: 8E038242
	s_mul_i32 s60, s60, s3                                     // 000000003158: 923C033C
	s_add_u32 s28, s28, s60                                    // 00000000315C: 801C3C1C
	s_addc_u32 s29, 0, s29                                     // 000000003160: 821D1D80
	s_mov_b32 s30, s3                                          // 000000003164: BE9E0003
	s_lshl_b32 s3, s3, 1                                       // 000000003168: 8E038103
	s_and_b32 s61, s7, 1                                       // 00000000316C: 863D8107
	s_cmp_eq_u32 s61, 1                                        // 000000003170: BF06813D
	s_cselect_b32 s60, 0, 1                                    // 000000003174: 853C8180
	v_mul_i32_i24_e64 v56, v7, s60                             // 000000003178: D1060038 00007907
	v_mul_i32_i24_e64 v57, v8, s61                             // 000000003180: D1060039 00007B08
	v_add_u32_e32 v56, v56, v57                                // 000000003188: 68707338
	v_mov_b32_e32 v7, v56                                      // 00000000318C: 7E0E0338
	s_mul_i32 s60, s7, 0x100                                   // 000000003190: 923CFF07 00000100
	s_sub_u32 s61, 4, s7                                       // 000000003198: 80BD0784
	s_mul_i32 s61, s61, 0x820                                  // 00000000319C: 923DFF3D 00000820
	s_add_u32 s76, s60, s61                                    // 0000000031A4: 804C3D3C
	v_lshlrev_b32_e32 v3, 2, v0                                // 0000000031A8: 24060082
	buffer_load_dword v23, v11, s[32:35], 0 offen              // 0000000031AC: E0501000 8008170B
	buffer_load_dword v25, v9, s[40:43], 0 offen               // 0000000031B4: E0501000 800A1909
	buffer_load_dword v26, v10, s[40:43], 0 offen              // 0000000031BC: E0501000 800A1A0A
	buffer_load_dword v36, s[20:23], 0 offen lds               // 0000000031C4: E0511000 80050024
	s_add_u32 m0, 0x100, s50                                   // 0000000031CC: 807C32FF 00000100
	buffer_load_dword v37, s[20:23], 0 offen lds               // 0000000031D4: E0511000 80050025
	s_add_u32 m0, 0x200, s50                                   // 0000000031DC: 807C32FF 00000200
	buffer_load_dword v38, s[20:23], 0 offen lds               // 0000000031E4: E0511000 80050026
	s_add_u32 m0, 0x300, s50                                   // 0000000031EC: 807C32FF 00000300
	buffer_load_dword v39, s[20:23], 0 offen lds               // 0000000031F4: E0511000 80050027
	s_add_u32 m0, 0x400, s50                                   // 0000000031FC: 807C32FF 00000400
	buffer_load_dword v40, s[20:23], 0 offen lds               // 000000003204: E0511000 80050028
	s_add_u32 m0, 0x500, s50                                   // 00000000320C: 807C32FF 00000500
	buffer_load_dword v41, s[20:23], 0 offen lds               // 000000003214: E0511000 80050029
	s_add_u32 m0, 0x600, s50                                   // 00000000321C: 807C32FF 00000600
	buffer_load_dword v42, s[20:23], 0 offen lds               // 000000003224: E0511000 8005002A
	s_add_u32 m0, 0x700, s50                                   // 00000000322C: 807C32FF 00000700
	buffer_load_dword v43, s[20:23], 0 offen lds               // 000000003234: E0511000 8005002B
	s_add_u32 m0, s50, s76                                     // 00000000323C: 807C4C32
	buffer_load_dword v7, s[28:31], 0 offen lds                // 000000003240: E0511000 80070007
	s_add_u32 m0, 0, s51                                       // 000000003248: 807C3380
	s_add_u32 s20, s57, s20                                    // 00000000324C: 80141439
	s_addc_u32 s21, 0, s21                                     // 000000003250: 82151580
	s_add_u32 s28, s3, s28                                     // 000000003254: 801C1C03
	s_addc_u32 s29, 0, s29                                     // 000000003258: 821D1D80
	buffer_load_dwordx4 a[0:3], v44, s[24:27], 0 offen         // 00000000325C: E05C1000 8086002C
	buffer_load_dwordx4 a[4:7], v44, s[24:27], 0 offen offset:1024// 000000003264: E05C1400 8086042C
	buffer_load_dwordx4 a[16:19], v45, s[24:27], 0 offen       // 00000000326C: E05C1000 8086102D
	buffer_load_dwordx4 a[20:23], v45, s[24:27], 0 offen offset:1024// 000000003274: E05C1400 8086142D
	buffer_load_dwordx4 a[32:35], v46, s[24:27], 0 offen       // 00000000327C: E05C1000 8086202E
	buffer_load_dwordx4 a[36:39], v46, s[24:27], 0 offen offset:1024// 000000003284: E05C1400 8086242E
	buffer_load_dwordx4 a[48:51], v47, s[24:27], 0 offen       // 00000000328C: E05C1000 8086302F
	buffer_load_dwordx4 a[52:55], v47, s[24:27], 0 offen offset:1024// 000000003294: E05C1400 8086342F
	buffer_load_dwordx4 a[8:11], v44, s[24:27], 0 offen offset:2048// 00000000329C: E05C1800 8086082C
	buffer_load_dwordx4 a[12:15], v44, s[24:27], 0 offen offset:3072// 0000000032A4: E05C1C00 80860C2C
	buffer_load_dwordx4 a[24:27], v45, s[24:27], 0 offen offset:2048// 0000000032AC: E05C1800 8086182D
	buffer_load_dwordx4 a[28:31], v45, s[24:27], 0 offen offset:3072// 0000000032B4: E05C1C00 80861C2D
	buffer_load_dwordx4 a[40:43], v46, s[24:27], 0 offen offset:2048// 0000000032BC: E05C1800 8086282E
	buffer_load_dwordx4 a[44:47], v46, s[24:27], 0 offen offset:3072// 0000000032C4: E05C1C00 80862C2E
	buffer_load_dwordx4 a[56:59], v47, s[24:27], 0 offen offset:2048// 0000000032CC: E05C1800 8086382F
	buffer_load_dwordx4 a[60:63], v47, s[24:27], 0 offen offset:3072// 0000000032D4: E05C1C00 80863C2F
	s_add_u32 s24, s58, s24                                    // 0000000032DC: 8018183A
	s_addc_u32 s25, 0, s25                                     // 0000000032E0: 82191980
	v_mov_b32_e32 v128, 0                                      // 0000000032E4: 7F000280
	v_mov_b32_e32 v64, 0                                       // 0000000032E8: 7E800280
	v_mov_b32_e32 v129, 0                                      // 0000000032EC: 7F020280
	v_mov_b32_e32 v65, 0                                       // 0000000032F0: 7E820280
	v_mov_b32_e32 v130, 0                                      // 0000000032F4: 7F040280
	v_mov_b32_e32 v66, 0                                       // 0000000032F8: 7E840280
	v_mov_b32_e32 v131, 0                                      // 0000000032FC: 7F060280
	v_mov_b32_e32 v67, 0                                       // 000000003300: 7E860280
	v_mov_b32_e32 v132, 0                                      // 000000003304: 7F080280
	v_mov_b32_e32 v68, 0                                       // 000000003308: 7E880280
	v_mov_b32_e32 v133, 0                                      // 00000000330C: 7F0A0280
	v_mov_b32_e32 v69, 0                                       // 000000003310: 7E8A0280
	v_mov_b32_e32 v134, 0                                      // 000000003314: 7F0C0280
	v_mov_b32_e32 v70, 0                                       // 000000003318: 7E8C0280
	v_mov_b32_e32 v135, 0                                      // 00000000331C: 7F0E0280
	v_mov_b32_e32 v71, 0                                       // 000000003320: 7E8E0280
	v_mov_b32_e32 v136, 0                                      // 000000003324: 7F100280
	v_mov_b32_e32 v72, 0                                       // 000000003328: 7E900280
	v_mov_b32_e32 v137, 0                                      // 00000000332C: 7F120280
	v_mov_b32_e32 v73, 0                                       // 000000003330: 7E920280
	v_mov_b32_e32 v138, 0                                      // 000000003334: 7F140280
	v_mov_b32_e32 v74, 0                                       // 000000003338: 7E940280
	v_mov_b32_e32 v139, 0                                      // 00000000333C: 7F160280
	v_mov_b32_e32 v75, 0                                       // 000000003340: 7E960280
	v_mov_b32_e32 v140, 0                                      // 000000003344: 7F180280
	v_mov_b32_e32 v76, 0                                       // 000000003348: 7E980280
	v_mov_b32_e32 v141, 0                                      // 00000000334C: 7F1A0280
	v_mov_b32_e32 v77, 0                                       // 000000003350: 7E9A0280
	v_mov_b32_e32 v142, 0                                      // 000000003354: 7F1C0280
	v_mov_b32_e32 v78, 0                                       // 000000003358: 7E9C0280
	v_mov_b32_e32 v143, 0                                      // 00000000335C: 7F1E0280
	v_mov_b32_e32 v79, 0                                       // 000000003360: 7E9E0280
	v_mov_b32_e32 v144, 0                                      // 000000003364: 7F200280
	v_mov_b32_e32 v80, 0                                       // 000000003368: 7EA00280
	v_mov_b32_e32 v145, 0                                      // 00000000336C: 7F220280
	v_mov_b32_e32 v81, 0                                       // 000000003370: 7EA20280
	v_mov_b32_e32 v146, 0                                      // 000000003374: 7F240280
	v_mov_b32_e32 v82, 0                                       // 000000003378: 7EA40280
	v_mov_b32_e32 v147, 0                                      // 00000000337C: 7F260280
	v_mov_b32_e32 v83, 0                                       // 000000003380: 7EA60280
	v_mov_b32_e32 v148, 0                                      // 000000003384: 7F280280
	v_mov_b32_e32 v84, 0                                       // 000000003388: 7EA80280
	v_mov_b32_e32 v149, 0                                      // 00000000338C: 7F2A0280
	v_mov_b32_e32 v85, 0                                       // 000000003390: 7EAA0280
	v_mov_b32_e32 v150, 0                                      // 000000003394: 7F2C0280
	v_mov_b32_e32 v86, 0                                       // 000000003398: 7EAC0280
	v_mov_b32_e32 v151, 0                                      // 00000000339C: 7F2E0280
	v_mov_b32_e32 v87, 0                                       // 0000000033A0: 7EAE0280
	v_mov_b32_e32 v152, 0                                      // 0000000033A4: 7F300280
	v_mov_b32_e32 v88, 0                                       // 0000000033A8: 7EB00280
	v_mov_b32_e32 v153, 0                                      // 0000000033AC: 7F320280
	v_mov_b32_e32 v89, 0                                       // 0000000033B0: 7EB20280
	v_mov_b32_e32 v154, 0                                      // 0000000033B4: 7F340280
	v_mov_b32_e32 v90, 0                                       // 0000000033B8: 7EB40280
	v_mov_b32_e32 v155, 0                                      // 0000000033BC: 7F360280
	v_mov_b32_e32 v91, 0                                       // 0000000033C0: 7EB60280
	v_mov_b32_e32 v156, 0                                      // 0000000033C4: 7F380280
	v_mov_b32_e32 v92, 0                                       // 0000000033C8: 7EB80280
	v_mov_b32_e32 v157, 0                                      // 0000000033CC: 7F3A0280
	v_mov_b32_e32 v93, 0                                       // 0000000033D0: 7EBA0280
	v_mov_b32_e32 v158, 0                                      // 0000000033D4: 7F3C0280
	v_mov_b32_e32 v94, 0                                       // 0000000033D8: 7EBC0280
	v_mov_b32_e32 v159, 0                                      // 0000000033DC: 7F3E0280
	v_mov_b32_e32 v95, 0                                       // 0000000033E0: 7EBE0280
	v_mov_b32_e32 v160, 0                                      // 0000000033E4: 7F400280
	v_mov_b32_e32 v96, 0                                       // 0000000033E8: 7EC00280
	v_mov_b32_e32 v161, 0                                      // 0000000033EC: 7F420280
	v_mov_b32_e32 v97, 0                                       // 0000000033F0: 7EC20280
	v_mov_b32_e32 v162, 0                                      // 0000000033F4: 7F440280
	v_mov_b32_e32 v98, 0                                       // 0000000033F8: 7EC40280
	v_mov_b32_e32 v163, 0                                      // 0000000033FC: 7F460280
	v_mov_b32_e32 v99, 0                                       // 000000003400: 7EC60280
	v_mov_b32_e32 v164, 0                                      // 000000003404: 7F480280
	v_mov_b32_e32 v100, 0                                      // 000000003408: 7EC80280
	v_mov_b32_e32 v165, 0                                      // 00000000340C: 7F4A0280
	v_mov_b32_e32 v101, 0                                      // 000000003410: 7ECA0280
	v_mov_b32_e32 v166, 0                                      // 000000003414: 7F4C0280
	v_mov_b32_e32 v102, 0                                      // 000000003418: 7ECC0280
	v_mov_b32_e32 v167, 0                                      // 00000000341C: 7F4E0280
	v_mov_b32_e32 v103, 0                                      // 000000003420: 7ECE0280
	v_mov_b32_e32 v168, 0                                      // 000000003424: 7F500280
	v_mov_b32_e32 v104, 0                                      // 000000003428: 7ED00280
	v_mov_b32_e32 v169, 0                                      // 00000000342C: 7F520280
	v_mov_b32_e32 v105, 0                                      // 000000003430: 7ED20280
	v_mov_b32_e32 v170, 0                                      // 000000003434: 7F540280
	v_mov_b32_e32 v106, 0                                      // 000000003438: 7ED40280
	v_mov_b32_e32 v171, 0                                      // 00000000343C: 7F560280
	v_mov_b32_e32 v107, 0                                      // 000000003440: 7ED60280
	v_mov_b32_e32 v172, 0                                      // 000000003444: 7F580280
	v_mov_b32_e32 v108, 0                                      // 000000003448: 7ED80280
	v_mov_b32_e32 v173, 0                                      // 00000000344C: 7F5A0280
	v_mov_b32_e32 v109, 0                                      // 000000003450: 7EDA0280
	v_mov_b32_e32 v174, 0                                      // 000000003454: 7F5C0280
	v_mov_b32_e32 v110, 0                                      // 000000003458: 7EDC0280
	v_mov_b32_e32 v175, 0                                      // 00000000345C: 7F5E0280
	v_mov_b32_e32 v111, 0                                      // 000000003460: 7EDE0280
	v_mov_b32_e32 v176, 0                                      // 000000003464: 7F600280
	v_mov_b32_e32 v112, 0                                      // 000000003468: 7EE00280
	v_mov_b32_e32 v177, 0                                      // 00000000346C: 7F620280
	v_mov_b32_e32 v113, 0                                      // 000000003470: 7EE20280
	v_mov_b32_e32 v178, 0                                      // 000000003474: 7F640280
	v_mov_b32_e32 v114, 0                                      // 000000003478: 7EE40280
	v_mov_b32_e32 v179, 0                                      // 00000000347C: 7F660280
	v_mov_b32_e32 v115, 0                                      // 000000003480: 7EE60280
	v_mov_b32_e32 v180, 0                                      // 000000003484: 7F680280
	v_mov_b32_e32 v116, 0                                      // 000000003488: 7EE80280
	v_mov_b32_e32 v181, 0                                      // 00000000348C: 7F6A0280
	v_mov_b32_e32 v117, 0                                      // 000000003490: 7EEA0280
	v_mov_b32_e32 v182, 0                                      // 000000003494: 7F6C0280
	v_mov_b32_e32 v118, 0                                      // 000000003498: 7EEC0280
	v_mov_b32_e32 v183, 0                                      // 00000000349C: 7F6E0280
	v_mov_b32_e32 v119, 0                                      // 0000000034A0: 7EEE0280
	v_mov_b32_e32 v184, 0                                      // 0000000034A4: 7F700280
	v_mov_b32_e32 v120, 0                                      // 0000000034A8: 7EF00280
	v_mov_b32_e32 v185, 0                                      // 0000000034AC: 7F720280
	v_mov_b32_e32 v121, 0                                      // 0000000034B0: 7EF20280
	v_mov_b32_e32 v186, 0                                      // 0000000034B4: 7F740280
	v_mov_b32_e32 v122, 0                                      // 0000000034B8: 7EF40280
	v_mov_b32_e32 v187, 0                                      // 0000000034BC: 7F760280
	v_mov_b32_e32 v123, 0                                      // 0000000034C0: 7EF60280
	v_mov_b32_e32 v188, 0                                      // 0000000034C4: 7F780280
	v_mov_b32_e32 v124, 0                                      // 0000000034C8: 7EF80280
	v_mov_b32_e32 v189, 0                                      // 0000000034CC: 7F7A0280
	v_mov_b32_e32 v125, 0                                      // 0000000034D0: 7EFA0280
	v_mov_b32_e32 v190, 0                                      // 0000000034D4: 7F7C0280
	v_mov_b32_e32 v126, 0                                      // 0000000034D8: 7EFC0280
	v_mov_b32_e32 v191, 0                                      // 0000000034DC: 7F7E0280
	v_mov_b32_e32 v127, 0                                      // 0000000034E0: 7EFE0280
	v_lshrrev_b32_e32 v56, 4, v0                               // 0000000034E4: 20700084
	v_mul_i32_i24_e32 v4, 34, v56                              // 0000000034E8: 0C0870A2
	v_and_b32_e32 v56, 15, v0                                  // 0000000034EC: 2670008F
	v_mul_i32_i24_e32 v57, 2, v56                              // 0000000034F0: 0C727082
	v_add_u32_e32 v4, v57, v4                                  // 0000000034F4: 68080939
	s_mul_i32 s60, s7, 0x88                                    // 0000000034F8: 923CFF07 00000088
	v_add_u32_e32 v4, s60, v4                                  // 000000003500: 6808083C
	v_lshlrev_b32_e32 v4, 2, v4                                // 000000003504: 24080882
	v_lshrrev_b32_e32 v56, 1, v0                               // 000000003508: 20700081
	v_mul_i32_i24_e32 v5, 34, v56                              // 00000000350C: 0C0A70A2
	v_and_b32_e32 v57, 1, v0                                   // 000000003510: 26720081
	v_add_u32_e32 v5, v57, v5                                  // 000000003514: 680A0B39
	s_mul_i32 s60, s7, 2                                       // 000000003518: 923C8207
	v_add_u32_e32 v5, s60, v5                                  // 00000000351C: 680A0A3C
	v_lshlrev_b32_e32 v5, 2, v5                                // 000000003520: 240A0A82
	s_waitcnt vmcnt(16)                                        // 000000003524: BF8C4F70
	s_barrier                                                  // 000000003528: BF8A0000
	ds_read_b128 v[192:195], v2                                // 00000000352C: D9FE0000 C0000002
	ds_read_b128 v[196:199], v2 offset:64                      // 000000003534: D9FE0040 C4000002
	ds_read_b128 v[200:203], v2 offset:128                     // 00000000353C: D9FE0080 C8000002
	ds_read_b128 v[204:207], v2 offset:192                     // 000000003544: D9FE00C0 CC000002
	ds_read_b128 v[208:211], v2 offset:1024                    // 00000000354C: D9FE0400 D0000002
	ds_read_b128 v[212:215], v2 offset:1088                    // 000000003554: D9FE0440 D4000002
	ds_read_b128 v[216:219], v2 offset:1152                    // 00000000355C: D9FE0480 D8000002
	ds_read_b128 v[220:223], v2 offset:1216                    // 000000003564: D9FE04C0 DC000002
	ds_read_b32 v15, v3 offset:8320                            // 00000000356C: D86C2080 0F000003
	ds_read_b32 v16, v3 offset:8576                            // 000000003574: D86C2180 10000003
	ds_read_b32 v17, v3 offset:8832                            // 00000000357C: D86C2280 11000003
	ds_read_b32 v18, v3 offset:9088                            // 000000003584: D86C2380 12000003
	s_cmp_lt_i32 s7, 2                                         // 00000000358C: BF048207
	s_cbranch_scc0 label_0F4D                                  // 000000003590: BF840CA8

0000000000003594 <label_02A5>:
	s_waitcnt vmcnt(8) lgkmcnt(0)                              // 000000003594: BF8C0078
	s_barrier                                                  // 000000003598: BF8A0000
	v_mfma_f32_16x16x32_fp8_fp8 v[160:163], a[0:1], v[192:193], 0// 00000000359C: D3F300A0 0A038100
	v_mfma_f32_16x16x32_fp8_fp8 v[160:163], a[2:3], v[194:195], v[160:163]// 0000000035A4: D3F300A0 0E838502
	buffer_load_dwordx4 a[64:67], v44, s[92:95], 0 offen       // 0000000035AC: E05C1000 8097402C
	v_mfma_f32_16x16x32_fp8_fp8 v[160:163], a[4:5], v[196:197], v[160:163]// 0000000035B4: D3F300A0 0E838904
	v_mfma_f32_16x16x32_fp8_fp8 v[160:163], a[6:7], v[198:199], v[160:163]// 0000000035BC: D3F300A0 0E838D06
	buffer_load_dword v36, s[20:23], 0 offen lds               // 0000000035C4: E0511000 80050024
	s_add_u32 m0, 0x100, s51                                   // 0000000035CC: 807C33FF 00000100
	v_mfma_f32_16x16x32_fp8_fp8 v[164:167], a[0:1], v[208:209], 0// 0000000035D4: D3F300A4 0A03A100
	v_mfma_f32_16x16x32_fp8_fp8 v[164:167], a[2:3], v[210:211], v[164:167]// 0000000035DC: D3F300A4 0E93A502
	buffer_load_dwordx4 a[68:71], v44, s[92:95], 0 offen offset:1024// 0000000035E4: E05C1400 8097442C
	v_mfma_f32_16x16x32_fp8_fp8 v[164:167], a[4:5], v[212:213], v[164:167]// 0000000035EC: D3F300A4 0E93A904
	v_mfma_f32_16x16x32_fp8_fp8 v[164:167], a[6:7], v[214:215], v[164:167]// 0000000035F4: D3F300A4 0E93AD06
	buffer_load_dword v37, s[20:23], 0 offen lds               // 0000000035FC: E0511000 80050025
	s_add_u32 m0, 0x200, s51                                   // 000000003604: 807C33FF 00000200
	v_mfma_f32_16x16x32_fp8_fp8 v[168:171], a[16:17], v[192:193], 0// 00000000360C: D3F300A8 0A038110
	v_mfma_f32_16x16x32_fp8_fp8 v[168:171], a[18:19], v[194:195], v[168:171]// 000000003614: D3F300A8 0EA38512
	buffer_load_dwordx4 a[80:83], v45, s[92:95], 0 offen       // 00000000361C: E05C1000 8097502D
	v_mfma_f32_16x16x32_fp8_fp8 v[168:171], a[20:21], v[196:197], v[168:171]// 000000003624: D3F300A8 0EA38914
	v_mfma_f32_16x16x32_fp8_fp8 v[168:171], a[22:23], v[198:199], v[168:171]// 00000000362C: D3F300A8 0EA38D16
	buffer_load_dword v38, s[20:23], 0 offen lds               // 000000003634: E0511000 80050026
	s_add_u32 m0, 0x300, s51                                   // 00000000363C: 807C33FF 00000300
	v_mfma_f32_16x16x32_fp8_fp8 v[172:175], a[16:17], v[208:209], 0// 000000003644: D3F300AC 0A03A110
	v_mfma_f32_16x16x32_fp8_fp8 v[172:175], a[18:19], v[210:211], v[172:175]// 00000000364C: D3F300AC 0EB3A512
	buffer_load_dwordx4 a[84:87], v45, s[92:95], 0 offen offset:1024// 000000003654: E05C1400 8097542D
	v_mfma_f32_16x16x32_fp8_fp8 v[172:175], a[20:21], v[212:213], v[172:175]// 00000000365C: D3F300AC 0EB3A914
	v_mfma_f32_16x16x32_fp8_fp8 v[172:175], a[22:23], v[214:215], v[172:175]// 000000003664: D3F300AC 0EB3AD16
	buffer_load_dword v39, s[20:23], 0 offen lds               // 00000000366C: E0511000 80050027
	s_add_u32 m0, 0x400, s51                                   // 000000003674: 807C33FF 00000400
	v_mfma_f32_16x16x32_fp8_fp8 v[176:179], a[32:33], v[192:193], 0// 00000000367C: D3F300B0 0A038120
	v_mfma_f32_16x16x32_fp8_fp8 v[176:179], a[34:35], v[194:195], v[176:179]// 000000003684: D3F300B0 0EC38522
	buffer_load_dwordx4 a[96:99], v46, s[92:95], 0 offen       // 00000000368C: E05C1000 8097602E
	v_mfma_f32_16x16x32_fp8_fp8 v[176:179], a[36:37], v[196:197], v[176:179]// 000000003694: D3F300B0 0EC38924
	v_mfma_f32_16x16x32_fp8_fp8 v[176:179], a[38:39], v[198:199], v[176:179]// 00000000369C: D3F300B0 0EC38D26
	buffer_load_dword v40, s[20:23], 0 offen lds               // 0000000036A4: E0511000 80050028
	s_add_u32 m0, 0x500, s51                                   // 0000000036AC: 807C33FF 00000500
	v_mfma_f32_16x16x32_fp8_fp8 v[180:183], a[32:33], v[208:209], 0// 0000000036B4: D3F300B4 0A03A120
	v_mfma_f32_16x16x32_fp8_fp8 v[180:183], a[34:35], v[210:211], v[180:183]// 0000000036BC: D3F300B4 0ED3A522
	buffer_load_dwordx4 a[100:103], v46, s[92:95], 0 offen offset:1024// 0000000036C4: E05C1400 8097642E
	v_mfma_f32_16x16x32_fp8_fp8 v[180:183], a[36:37], v[212:213], v[180:183]// 0000000036CC: D3F300B4 0ED3A924
	v_mfma_f32_16x16x32_fp8_fp8 v[180:183], a[38:39], v[214:215], v[180:183]// 0000000036D4: D3F300B4 0ED3AD26
	buffer_load_dword v41, s[20:23], 0 offen lds               // 0000000036DC: E0511000 80050029
	s_add_u32 m0, 0x600, s51                                   // 0000000036E4: 807C33FF 00000600
	v_mfma_f32_16x16x32_fp8_fp8 v[184:187], a[48:49], v[192:193], 0// 0000000036EC: D3F300B8 0A038130
	v_mfma_f32_16x16x32_fp8_fp8 v[184:187], a[50:51], v[194:195], v[184:187]// 0000000036F4: D3F300B8 0EE38532
	buffer_load_dwordx4 a[112:115], v47, s[92:95], 0 offen     // 0000000036FC: E05C1000 8097702F
	v_mfma_f32_16x16x32_fp8_fp8 v[184:187], a[52:53], v[196:197], v[184:187]// 000000003704: D3F300B8 0EE38934
	v_mfma_f32_16x16x32_fp8_fp8 v[184:187], a[54:55], v[198:199], v[184:187]// 00000000370C: D3F300B8 0EE38D36
	buffer_load_dword v42, s[20:23], 0 offen lds               // 000000003714: E0511000 8005002A
	s_add_u32 m0, 0x700, s51                                   // 00000000371C: 807C33FF 00000700
	v_mfma_f32_16x16x32_fp8_fp8 v[188:191], a[48:49], v[208:209], 0// 000000003724: D3F300BC 0A03A130
	v_mfma_f32_16x16x32_fp8_fp8 v[188:191], a[50:51], v[210:211], v[188:191]// 00000000372C: D3F300BC 0EF3A532
	buffer_load_dwordx4 a[116:119], v47, s[92:95], 0 offen offset:1024// 000000003734: E05C1400 8097742F
	v_mfma_f32_16x16x32_fp8_fp8 v[188:191], a[52:53], v[212:213], v[188:191]// 00000000373C: D3F300BC 0EF3A934
	v_mfma_f32_16x16x32_fp8_fp8 v[188:191], a[54:55], v[214:215], v[188:191]// 000000003744: D3F300BC 0EF3AD36
	buffer_load_dword v43, s[20:23], 0 offen lds               // 00000000374C: E0511000 8005002B
	s_add_u32 m0, s51, s76                                     // 000000003754: 807C4C33
	buffer_load_dword v7, s[28:31], 0 offen lds                // 000000003758: E0511000 80070007
	s_add_u32 m0, 0, s50                                       // 000000003760: 807C3280
	buffer_load_dword v24, v13, s[32:35], 0 offen              // 000000003764: E0501000 8008180D
	v_mul_f32_dpp v56, v23, v15 row_newbcast:0 row_mask:0xf bank_mask:0xf// 00000000376C: 0A701EFA FF015017
	v_mov_b32_e32 v57, v56                                     // 000000003774: 7E720338
	v_pk_fma_f32 v[128:129], v[160:161], v[56:57], v[128:129]  // 000000003778: D3B04080 1E0271A0
	v_pk_fma_f32 v[130:131], v[162:163], v[56:57], v[130:131]  // 000000003780: D3B04082 1E0A71A2
	v_pk_fma_f32 v[136:137], v[168:169], v[56:57], v[136:137]  // 000000003788: D3B04088 1E2271A8
	v_pk_fma_f32 v[138:139], v[170:171], v[56:57], v[138:139]  // 000000003790: D3B0408A 1E2A71AA
	v_mul_f32_dpp v56, v23, v15 row_newbcast:1 row_mask:0xf bank_mask:0xf// 000000003798: 0A701EFA FF015117
	v_mov_b32_e32 v57, v56                                     // 0000000037A0: 7E720338
	v_pk_fma_f32 v[144:145], v[176:177], v[56:57], v[144:145]  // 0000000037A4: D3B04090 1E4271B0
	v_pk_fma_f32 v[146:147], v[178:179], v[56:57], v[146:147]  // 0000000037AC: D3B04092 1E4A71B2
	v_pk_fma_f32 v[152:153], v[184:185], v[56:57], v[152:153]  // 0000000037B4: D3B04098 1E6271B8
	v_pk_fma_f32 v[154:155], v[186:187], v[56:57], v[154:155]  // 0000000037BC: D3B0409A 1E6A71BA
	v_mul_f32_dpp v56, v23, v16 row_newbcast:0 row_mask:0xf bank_mask:0xf// 0000000037C4: 0A7020FA FF015017
	v_mov_b32_e32 v57, v56                                     // 0000000037CC: 7E720338
	v_pk_fma_f32 v[132:133], v[164:165], v[56:57], v[132:133]  // 0000000037D0: D3B04084 1E1271A4
	v_pk_fma_f32 v[134:135], v[166:167], v[56:57], v[134:135]  // 0000000037D8: D3B04086 1E1A71A6
	v_pk_fma_f32 v[140:141], v[172:173], v[56:57], v[140:141]  // 0000000037E0: D3B0408C 1E3271AC
	v_pk_fma_f32 v[142:143], v[174:175], v[56:57], v[142:143]  // 0000000037E8: D3B0408E 1E3A71AE
	v_mul_f32_dpp v56, v23, v16 row_newbcast:1 row_mask:0xf bank_mask:0xf// 0000000037F0: 0A7020FA FF015117
	v_mov_b32_e32 v57, v56                                     // 0000000037F8: 7E720338
	v_pk_fma_f32 v[148:149], v[180:181], v[56:57], v[148:149]  // 0000000037FC: D3B04094 1E5271B4
	v_pk_fma_f32 v[150:151], v[182:183], v[56:57], v[150:151]  // 000000003804: D3B04096 1E5A71B6
	v_pk_fma_f32 v[156:157], v[188:189], v[56:57], v[156:157]  // 00000000380C: D3B0409C 1E7271BC
	v_pk_fma_f32 v[158:159], v[190:191], v[56:57], v[158:159]  // 000000003814: D3B0409E 1E7A71BE
	s_waitcnt vmcnt(22)                                        // 00000000381C: BF8C4F76
	v_mfma_f32_16x16x32_fp8_fp8 v[160:163], a[8:9], v[200:201], 0// 000000003820: D3F300A0 0A039108
	v_mfma_f32_16x16x32_fp8_fp8 v[160:163], a[10:11], v[202:203], v[160:163]// 000000003828: D3F300A0 0E83950A
	buffer_load_dwordx4 a[72:75], v44, s[92:95], 0 offen offset:2048// 000000003830: E05C1800 8097482C
	v_mfma_f32_16x16x32_fp8_fp8 v[160:163], a[12:13], v[204:205], v[160:163]// 000000003838: D3F300A0 0E83990C
	v_mfma_f32_16x16x32_fp8_fp8 v[160:163], a[14:15], v[206:207], v[160:163]// 000000003840: D3F300A0 0E839D0E
	v_mfma_f32_16x16x32_fp8_fp8 v[164:167], a[8:9], v[216:217], 0// 000000003848: D3F300A4 0A03B108
	v_mfma_f32_16x16x32_fp8_fp8 v[164:167], a[10:11], v[218:219], v[164:167]// 000000003850: D3F300A4 0E93B50A
	buffer_load_dwordx4 a[76:79], v44, s[92:95], 0 offen offset:3072// 000000003858: E05C1C00 80974C2C
	v_mfma_f32_16x16x32_fp8_fp8 v[164:167], a[12:13], v[220:221], v[164:167]// 000000003860: D3F300A4 0E93B90C
	v_mfma_f32_16x16x32_fp8_fp8 v[164:167], a[14:15], v[222:223], v[164:167]// 000000003868: D3F300A4 0E93BD0E
	v_mfma_f32_16x16x32_fp8_fp8 v[168:171], a[24:25], v[200:201], 0// 000000003870: D3F300A8 0A039118
	v_mfma_f32_16x16x32_fp8_fp8 v[168:171], a[26:27], v[202:203], v[168:171]// 000000003878: D3F300A8 0EA3951A
	buffer_load_dwordx4 a[88:91], v45, s[92:95], 0 offen offset:2048// 000000003880: E05C1800 8097582D
	v_mfma_f32_16x16x32_fp8_fp8 v[168:171], a[28:29], v[204:205], v[168:171]// 000000003888: D3F300A8 0EA3991C
	v_mfma_f32_16x16x32_fp8_fp8 v[168:171], a[30:31], v[206:207], v[168:171]// 000000003890: D3F300A8 0EA39D1E
	v_mfma_f32_16x16x32_fp8_fp8 v[172:175], a[24:25], v[216:217], 0// 000000003898: D3F300AC 0A03B118
	v_mfma_f32_16x16x32_fp8_fp8 v[172:175], a[26:27], v[218:219], v[172:175]// 0000000038A0: D3F300AC 0EB3B51A
	buffer_load_dwordx4 a[92:95], v45, s[92:95], 0 offen offset:3072// 0000000038A8: E05C1C00 80975C2D
	v_mfma_f32_16x16x32_fp8_fp8 v[172:175], a[28:29], v[220:221], v[172:175]// 0000000038B0: D3F300AC 0EB3B91C
	v_mfma_f32_16x16x32_fp8_fp8 v[172:175], a[30:31], v[222:223], v[172:175]// 0000000038B8: D3F300AC 0EB3BD1E
	s_waitcnt vmcnt(22)                                        // 0000000038C0: BF8C4F76
	v_mfma_f32_16x16x32_fp8_fp8 v[176:179], a[40:41], v[200:201], 0// 0000000038C4: D3F300B0 0A039128
	v_mfma_f32_16x16x32_fp8_fp8 v[176:179], a[42:43], v[202:203], v[176:179]// 0000000038CC: D3F300B0 0EC3952A
	buffer_load_dwordx4 a[104:107], v46, s[92:95], 0 offen offset:2048// 0000000038D4: E05C1800 8097682E
	v_mfma_f32_16x16x32_fp8_fp8 v[176:179], a[44:45], v[204:205], v[176:179]// 0000000038DC: D3F300B0 0EC3992C
	v_mfma_f32_16x16x32_fp8_fp8 v[176:179], a[46:47], v[206:207], v[176:179]// 0000000038E4: D3F300B0 0EC39D2E
	v_mfma_f32_16x16x32_fp8_fp8 v[180:183], a[40:41], v[216:217], 0// 0000000038EC: D3F300B4 0A03B128
	v_mfma_f32_16x16x32_fp8_fp8 v[180:183], a[42:43], v[218:219], v[180:183]// 0000000038F4: D3F300B4 0ED3B52A
	buffer_load_dwordx4 a[108:111], v46, s[92:95], 0 offen offset:3072// 0000000038FC: E05C1C00 80976C2E
	v_mfma_f32_16x16x32_fp8_fp8 v[180:183], a[44:45], v[220:221], v[180:183]// 000000003904: D3F300B4 0ED3B92C
	v_mfma_f32_16x16x32_fp8_fp8 v[180:183], a[46:47], v[222:223], v[180:183]// 00000000390C: D3F300B4 0ED3BD2E
	v_mfma_f32_16x16x32_fp8_fp8 v[184:187], a[56:57], v[200:201], 0// 000000003914: D3F300B8 0A039138
	v_mfma_f32_16x16x32_fp8_fp8 v[184:187], a[58:59], v[202:203], v[184:187]// 00000000391C: D3F300B8 0EE3953A
	buffer_load_dwordx4 a[120:123], v47, s[92:95], 0 offen offset:2048// 000000003924: E05C1800 8097782F
	v_mfma_f32_16x16x32_fp8_fp8 v[184:187], a[60:61], v[204:205], v[184:187]// 00000000392C: D3F300B8 0EE3993C
	v_mfma_f32_16x16x32_fp8_fp8 v[184:187], a[62:63], v[206:207], v[184:187]// 000000003934: D3F300B8 0EE39D3E
	v_mfma_f32_16x16x32_fp8_fp8 v[188:191], a[56:57], v[216:217], 0// 00000000393C: D3F300BC 0A03B138
	v_mfma_f32_16x16x32_fp8_fp8 v[188:191], a[58:59], v[218:219], v[188:191]// 000000003944: D3F300BC 0EF3B53A
	buffer_load_dwordx4 a[124:127], v47, s[92:95], 0 offen offset:3072// 00000000394C: E05C1C00 80977C2F
	v_mfma_f32_16x16x32_fp8_fp8 v[188:191], a[60:61], v[220:221], v[188:191]// 000000003954: D3F300BC 0EF3B93C
	v_mfma_f32_16x16x32_fp8_fp8 v[188:191], a[62:63], v[222:223], v[188:191]// 00000000395C: D3F300BC 0EF3BD3E
	v_mul_f32_dpp v56, v23, v17 row_newbcast:2 row_mask:0xf bank_mask:0xf// 000000003964: 0A7022FA FF015217
	v_mov_b32_e32 v57, v56                                     // 00000000396C: 7E720338
	v_pk_fma_f32 v[128:129], v[160:161], v[56:57], v[128:129]  // 000000003970: D3B04080 1E0271A0
	v_pk_fma_f32 v[130:131], v[162:163], v[56:57], v[130:131]  // 000000003978: D3B04082 1E0A71A2
	v_pk_fma_f32 v[136:137], v[168:169], v[56:57], v[136:137]  // 000000003980: D3B04088 1E2271A8
	v_pk_fma_f32 v[138:139], v[170:171], v[56:57], v[138:139]  // 000000003988: D3B0408A 1E2A71AA
	v_mul_f32_dpp v56, v23, v17 row_newbcast:3 row_mask:0xf bank_mask:0xf// 000000003990: 0A7022FA FF015317
	v_mov_b32_e32 v57, v56                                     // 000000003998: 7E720338
	v_pk_fma_f32 v[144:145], v[176:177], v[56:57], v[144:145]  // 00000000399C: D3B04090 1E4271B0
	v_pk_fma_f32 v[146:147], v[178:179], v[56:57], v[146:147]  // 0000000039A4: D3B04092 1E4A71B2
	v_pk_fma_f32 v[152:153], v[184:185], v[56:57], v[152:153]  // 0000000039AC: D3B04098 1E6271B8
	v_pk_fma_f32 v[154:155], v[186:187], v[56:57], v[154:155]  // 0000000039B4: D3B0409A 1E6A71BA
	v_mul_f32_dpp v56, v23, v18 row_newbcast:2 row_mask:0xf bank_mask:0xf// 0000000039BC: 0A7024FA FF015217
	v_mov_b32_e32 v57, v56                                     // 0000000039C4: 7E720338
	v_pk_fma_f32 v[132:133], v[164:165], v[56:57], v[132:133]  // 0000000039C8: D3B04084 1E1271A4
	v_pk_fma_f32 v[134:135], v[166:167], v[56:57], v[134:135]  // 0000000039D0: D3B04086 1E1A71A6
	v_pk_fma_f32 v[140:141], v[172:173], v[56:57], v[140:141]  // 0000000039D8: D3B0408C 1E3271AC
	v_pk_fma_f32 v[142:143], v[174:175], v[56:57], v[142:143]  // 0000000039E0: D3B0408E 1E3A71AE
	v_mul_f32_dpp v56, v23, v18 row_newbcast:3 row_mask:0xf bank_mask:0xf// 0000000039E8: 0A7024FA FF015317
	v_mov_b32_e32 v57, v56                                     // 0000000039F0: 7E720338
	v_pk_fma_f32 v[148:149], v[180:181], v[56:57], v[148:149]  // 0000000039F4: D3B04094 1E5271B4
	v_pk_fma_f32 v[150:151], v[182:183], v[56:57], v[150:151]  // 0000000039FC: D3B04096 1E5A71B6
	v_pk_fma_f32 v[156:157], v[188:189], v[56:57], v[156:157]  // 000000003A04: D3B0409C 1E7271BC
	v_pk_fma_f32 v[158:159], v[190:191], v[56:57], v[158:159]  // 000000003A0C: D3B0409E 1E7A71BE
	s_add_u32 s60, 0x100, s80                                  // 000000003A14: 803C50FF 00000100
	s_cmp_lt_u32 s60, s81                                      // 000000003A1C: BF0A513C
	s_cselect_b32 s4, s4, 0                                    // 000000003A20: 85048004
	s_add_u32 s32, s4, s32                                     // 000000003A24: 80202004
	s_addc_u32 s33, 0, s33                                     // 000000003A28: 82212180
	s_waitcnt vmcnt(8)                                         // 000000003A2C: BF8C0F78
	s_barrier                                                  // 000000003A30: BF8A0000
	v_mfma_f32_16x16x32_fp8_fp8 v[96:99], a[64:65], v[192:193], 0// 000000003A34: D3F30060 0A038140
	v_mfma_f32_16x16x32_fp8_fp8 v[96:99], a[66:67], v[194:195], v[96:99]// 000000003A3C: D3F30060 0D838542
	buffer_load_dwordx4 a[0:3], v44, s[24:27], 0 offen         // 000000003A44: E05C1000 8086002C
	v_mfma_f32_16x16x32_fp8_fp8 v[96:99], a[68:69], v[196:197], v[96:99]// 000000003A4C: D3F30060 0D838944
	v_mfma_f32_16x16x32_fp8_fp8 v[96:99], a[70:71], v[198:199], v[96:99]// 000000003A54: D3F30060 0D838D46
	buffer_load_dword v23, v11, s[32:35], 0 offen              // 000000003A5C: E0501000 8008170B
	v_mfma_f32_16x16x32_fp8_fp8 v[100:103], a[64:65], v[208:209], 0// 000000003A64: D3F30064 0A03A140
	v_mfma_f32_16x16x32_fp8_fp8 v[100:103], a[66:67], v[210:211], v[100:103]// 000000003A6C: D3F30064 0D93A542
	buffer_load_dwordx4 a[4:7], v44, s[24:27], 0 offen offset:1024// 000000003A74: E05C1400 8086042C
	v_mfma_f32_16x16x32_fp8_fp8 v[100:103], a[68:69], v[212:213], v[100:103]// 000000003A7C: D3F30064 0D93A944
	v_mfma_f32_16x16x32_fp8_fp8 v[100:103], a[70:71], v[214:215], v[100:103]// 000000003A84: D3F30064 0D93AD46
	v_mfma_f32_16x16x32_fp8_fp8 v[104:107], a[80:81], v[192:193], 0// 000000003A8C: D3F30068 0A038150
	v_mfma_f32_16x16x32_fp8_fp8 v[104:107], a[82:83], v[194:195], v[104:107]// 000000003A94: D3F30068 0DA38552
	buffer_load_dwordx4 a[16:19], v45, s[24:27], 0 offen       // 000000003A9C: E05C1000 8086102D
	v_mfma_f32_16x16x32_fp8_fp8 v[104:107], a[84:85], v[196:197], v[104:107]// 000000003AA4: D3F30068 0DA38954
	v_mfma_f32_16x16x32_fp8_fp8 v[104:107], a[86:87], v[198:199], v[104:107]// 000000003AAC: D3F30068 0DA38D56
	v_mfma_f32_16x16x32_fp8_fp8 v[108:111], a[80:81], v[208:209], 0// 000000003AB4: D3F3006C 0A03A150
	v_mfma_f32_16x16x32_fp8_fp8 v[108:111], a[82:83], v[210:211], v[108:111]// 000000003ABC: D3F3006C 0DB3A552
	buffer_load_dwordx4 a[20:23], v45, s[24:27], 0 offen offset:1024// 000000003AC4: E05C1400 8086142D
	v_mfma_f32_16x16x32_fp8_fp8 v[108:111], a[84:85], v[212:213], v[108:111]// 000000003ACC: D3F3006C 0DB3A954
	v_mfma_f32_16x16x32_fp8_fp8 v[108:111], a[86:87], v[214:215], v[108:111]// 000000003AD4: D3F3006C 0DB3AD56
	v_mfma_f32_16x16x32_fp8_fp8 v[112:115], a[96:97], v[192:193], 0// 000000003ADC: D3F30070 0A038160
	v_mfma_f32_16x16x32_fp8_fp8 v[112:115], a[98:99], v[194:195], v[112:115]// 000000003AE4: D3F30070 0DC38562
	buffer_load_dwordx4 a[32:35], v46, s[24:27], 0 offen       // 000000003AEC: E05C1000 8086202E
	v_mfma_f32_16x16x32_fp8_fp8 v[112:115], a[100:101], v[196:197], v[112:115]// 000000003AF4: D3F30070 0DC38964
	v_mfma_f32_16x16x32_fp8_fp8 v[112:115], a[102:103], v[198:199], v[112:115]// 000000003AFC: D3F30070 0DC38D66
	v_mfma_f32_16x16x32_fp8_fp8 v[116:119], a[96:97], v[208:209], 0// 000000003B04: D3F30074 0A03A160
	v_mfma_f32_16x16x32_fp8_fp8 v[116:119], a[98:99], v[210:211], v[116:119]// 000000003B0C: D3F30074 0DD3A562
	buffer_load_dwordx4 a[36:39], v46, s[24:27], 0 offen offset:1024// 000000003B14: E05C1400 8086242E
	v_mfma_f32_16x16x32_fp8_fp8 v[116:119], a[100:101], v[212:213], v[116:119]// 000000003B1C: D3F30074 0DD3A964
	v_mfma_f32_16x16x32_fp8_fp8 v[116:119], a[102:103], v[214:215], v[116:119]// 000000003B24: D3F30074 0DD3AD66
	v_mfma_f32_16x16x32_fp8_fp8 v[120:123], a[112:113], v[192:193], 0// 000000003B2C: D3F30078 0A038170
	v_mfma_f32_16x16x32_fp8_fp8 v[120:123], a[114:115], v[194:195], v[120:123]// 000000003B34: D3F30078 0DE38572
	buffer_load_dwordx4 a[48:51], v47, s[24:27], 0 offen       // 000000003B3C: E05C1000 8086302F
	v_mfma_f32_16x16x32_fp8_fp8 v[120:123], a[116:117], v[196:197], v[120:123]// 000000003B44: D3F30078 0DE38974
	v_mfma_f32_16x16x32_fp8_fp8 v[120:123], a[118:119], v[198:199], v[120:123]// 000000003B4C: D3F30078 0DE38D76
	v_mfma_f32_16x16x32_fp8_fp8 v[124:127], a[112:113], v[208:209], 0// 000000003B54: D3F3007C 0A03A170
	v_mfma_f32_16x16x32_fp8_fp8 v[124:127], a[114:115], v[210:211], v[124:127]// 000000003B5C: D3F3007C 0DF3A572
	buffer_load_dwordx4 a[52:55], v47, s[24:27], 0 offen offset:1024// 000000003B64: E05C1400 8086342F
	v_mfma_f32_16x16x32_fp8_fp8 v[124:127], a[116:117], v[212:213], v[124:127]// 000000003B6C: D3F3007C 0DF3A974
	v_mfma_f32_16x16x32_fp8_fp8 v[124:127], a[118:119], v[214:215], v[124:127]// 000000003B74: D3F3007C 0DF3AD76
	v_mul_f32_dpp v56, v24, v15 row_newbcast:0 row_mask:0xf bank_mask:0xf// 000000003B7C: 0A701EFA FF015018
	v_mov_b32_e32 v57, v56                                     // 000000003B84: 7E720338
	v_pk_fma_f32 v[64:65], v[96:97], v[56:57], v[64:65]        // 000000003B88: D3B04040 1D027160
	v_pk_fma_f32 v[66:67], v[98:99], v[56:57], v[66:67]        // 000000003B90: D3B04042 1D0A7162
	v_pk_fma_f32 v[72:73], v[104:105], v[56:57], v[72:73]      // 000000003B98: D3B04048 1D227168
	v_pk_fma_f32 v[74:75], v[106:107], v[56:57], v[74:75]      // 000000003BA0: D3B0404A 1D2A716A
	v_mul_f32_dpp v56, v24, v15 row_newbcast:1 row_mask:0xf bank_mask:0xf// 000000003BA8: 0A701EFA FF015118
	v_mov_b32_e32 v57, v56                                     // 000000003BB0: 7E720338
	v_pk_fma_f32 v[80:81], v[112:113], v[56:57], v[80:81]      // 000000003BB4: D3B04050 1D427170
	v_pk_fma_f32 v[82:83], v[114:115], v[56:57], v[82:83]      // 000000003BBC: D3B04052 1D4A7172
	v_pk_fma_f32 v[88:89], v[120:121], v[56:57], v[88:89]      // 000000003BC4: D3B04058 1D627178
	v_pk_fma_f32 v[90:91], v[122:123], v[56:57], v[90:91]      // 000000003BCC: D3B0405A 1D6A717A
	v_mul_f32_dpp v56, v24, v16 row_newbcast:0 row_mask:0xf bank_mask:0xf// 000000003BD4: 0A7020FA FF015018
	v_mov_b32_e32 v57, v56                                     // 000000003BDC: 7E720338
	v_pk_fma_f32 v[68:69], v[100:101], v[56:57], v[68:69]      // 000000003BE0: D3B04044 1D127164
	v_pk_fma_f32 v[70:71], v[102:103], v[56:57], v[70:71]      // 000000003BE8: D3B04046 1D1A7166
	v_pk_fma_f32 v[76:77], v[108:109], v[56:57], v[76:77]      // 000000003BF0: D3B0404C 1D32716C
	v_pk_fma_f32 v[78:79], v[110:111], v[56:57], v[78:79]      // 000000003BF8: D3B0404E 1D3A716E
	v_mul_f32_dpp v56, v24, v16 row_newbcast:1 row_mask:0xf bank_mask:0xf// 000000003C00: 0A7020FA FF015118
	v_mov_b32_e32 v57, v56                                     // 000000003C08: 7E720338
	v_pk_fma_f32 v[84:85], v[116:117], v[56:57], v[84:85]      // 000000003C0C: D3B04054 1D527174
	v_pk_fma_f32 v[86:87], v[118:119], v[56:57], v[86:87]      // 000000003C14: D3B04056 1D5A7176
	v_pk_fma_f32 v[92:93], v[124:125], v[56:57], v[92:93]      // 000000003C1C: D3B0405C 1D72717C
	v_pk_fma_f32 v[94:95], v[126:127], v[56:57], v[94:95]      // 000000003C24: D3B0405E 1D7A717E
	s_waitcnt vmcnt(13)                                        // 000000003C2C: BF8C0F7D
	v_mfma_f32_16x16x32_fp8_fp8 v[96:99], a[72:73], v[200:201], 0// 000000003C30: D3F30060 0A039148
	v_mfma_f32_16x16x32_fp8_fp8 v[96:99], a[74:75], v[202:203], v[96:99]// 000000003C38: D3F30060 0D83954A
	buffer_load_dwordx4 a[8:11], v44, s[24:27], 0 offen offset:2048// 000000003C40: E05C1800 8086082C
	v_mfma_f32_16x16x32_fp8_fp8 v[96:99], a[76:77], v[204:205], v[96:99]// 000000003C48: D3F30060 0D83994C
	v_mfma_f32_16x16x32_fp8_fp8 v[96:99], a[78:79], v[206:207], v[96:99]// 000000003C50: D3F30060 0D839D4E
	ds_read_b128 v[224:227], v2 offset:9344                    // 000000003C58: D9FE2480 E0000002
	ds_read_b32 v19, v3 offset:17664                           // 000000003C60: D86C4500 13000003
	v_mfma_f32_16x16x32_fp8_fp8 v[100:103], a[72:73], v[216:217], 0// 000000003C68: D3F30064 0A03B148
	v_mfma_f32_16x16x32_fp8_fp8 v[100:103], a[74:75], v[218:219], v[100:103]// 000000003C70: D3F30064 0D93B54A
	buffer_load_dwordx4 a[12:15], v44, s[24:27], 0 offen offset:3072// 000000003C78: E05C1C00 80860C2C
	v_mfma_f32_16x16x32_fp8_fp8 v[100:103], a[76:77], v[220:221], v[100:103]// 000000003C80: D3F30064 0D93B94C
	v_mfma_f32_16x16x32_fp8_fp8 v[100:103], a[78:79], v[222:223], v[100:103]// 000000003C88: D3F30064 0D93BD4E
	ds_read_b128 v[228:231], v2 offset:9408                    // 000000003C90: D9FE24C0 E4000002
	ds_read_b32 v20, v3 offset:17920                           // 000000003C98: D86C4600 14000003
	v_mfma_f32_16x16x32_fp8_fp8 v[104:107], a[88:89], v[200:201], 0// 000000003CA0: D3F30068 0A039158
	v_mfma_f32_16x16x32_fp8_fp8 v[104:107], a[90:91], v[202:203], v[104:107]// 000000003CA8: D3F30068 0DA3955A
	buffer_load_dwordx4 a[24:27], v45, s[24:27], 0 offen offset:2048// 000000003CB0: E05C1800 8086182D
	v_mfma_f32_16x16x32_fp8_fp8 v[104:107], a[92:93], v[204:205], v[104:107]// 000000003CB8: D3F30068 0DA3995C
	v_mfma_f32_16x16x32_fp8_fp8 v[104:107], a[94:95], v[206:207], v[104:107]// 000000003CC0: D3F30068 0DA39D5E
	ds_read_b128 v[232:235], v2 offset:9472                    // 000000003CC8: D9FE2500 E8000002
	ds_read_b32 v21, v3 offset:18176                           // 000000003CD0: D86C4700 15000003
	v_mfma_f32_16x16x32_fp8_fp8 v[108:111], a[88:89], v[216:217], 0// 000000003CD8: D3F3006C 0A03B158
	v_mfma_f32_16x16x32_fp8_fp8 v[108:111], a[90:91], v[218:219], v[108:111]// 000000003CE0: D3F3006C 0DB3B55A
	buffer_load_dwordx4 a[28:31], v45, s[24:27], 0 offen offset:3072// 000000003CE8: E05C1C00 80861C2D
	v_mfma_f32_16x16x32_fp8_fp8 v[108:111], a[92:93], v[220:221], v[108:111]// 000000003CF0: D3F3006C 0DB3B95C
	v_mfma_f32_16x16x32_fp8_fp8 v[108:111], a[94:95], v[222:223], v[108:111]// 000000003CF8: D3F3006C 0DB3BD5E
	ds_read_b128 v[236:239], v2 offset:9536                    // 000000003D00: D9FE2540 EC000002
	ds_read_b32 v22, v3 offset:18432                           // 000000003D08: D86C4800 16000003
	s_waitcnt vmcnt(13)                                        // 000000003D10: BF8C0F7D
	v_mfma_f32_16x16x32_fp8_fp8 v[112:115], a[104:105], v[200:201], 0// 000000003D14: D3F30070 0A039168
	v_mfma_f32_16x16x32_fp8_fp8 v[112:115], a[106:107], v[202:203], v[112:115]// 000000003D1C: D3F30070 0DC3956A
	buffer_load_dwordx4 a[40:43], v46, s[24:27], 0 offen offset:2048// 000000003D24: E05C1800 8086282E
	v_mfma_f32_16x16x32_fp8_fp8 v[112:115], a[108:109], v[204:205], v[112:115]// 000000003D2C: D3F30070 0DC3996C
	v_mfma_f32_16x16x32_fp8_fp8 v[112:115], a[110:111], v[206:207], v[112:115]// 000000003D34: D3F30070 0DC39D6E
	ds_read_b128 v[240:243], v2 offset:10368                   // 000000003D3C: D9FE2880 F0000002
	v_mfma_f32_16x16x32_fp8_fp8 v[116:119], a[104:105], v[216:217], 0// 000000003D44: D3F30074 0A03B168
	v_mfma_f32_16x16x32_fp8_fp8 v[116:119], a[106:107], v[218:219], v[116:119]// 000000003D4C: D3F30074 0DD3B56A
	buffer_load_dwordx4 a[44:47], v46, s[24:27], 0 offen offset:3072// 000000003D54: E05C1C00 80862C2E
	v_mfma_f32_16x16x32_fp8_fp8 v[116:119], a[108:109], v[220:221], v[116:119]// 000000003D5C: D3F30074 0DD3B96C
	v_mfma_f32_16x16x32_fp8_fp8 v[116:119], a[110:111], v[222:223], v[116:119]// 000000003D64: D3F30074 0DD3BD6E
	ds_read_b128 v[244:247], v2 offset:10432                   // 000000003D6C: D9FE28C0 F4000002
	v_mfma_f32_16x16x32_fp8_fp8 v[120:123], a[120:121], v[200:201], 0// 000000003D74: D3F30078 0A039178
	v_mfma_f32_16x16x32_fp8_fp8 v[120:123], a[122:123], v[202:203], v[120:123]// 000000003D7C: D3F30078 0DE3957A
	buffer_load_dwordx4 a[56:59], v47, s[24:27], 0 offen offset:2048// 000000003D84: E05C1800 8086382F
	v_mfma_f32_16x16x32_fp8_fp8 v[120:123], a[124:125], v[204:205], v[120:123]// 000000003D8C: D3F30078 0DE3997C
	v_mfma_f32_16x16x32_fp8_fp8 v[120:123], a[126:127], v[206:207], v[120:123]// 000000003D94: D3F30078 0DE39D7E
	ds_read_b128 v[248:251], v2 offset:10496                   // 000000003D9C: D9FE2900 F8000002
	v_mfma_f32_16x16x32_fp8_fp8 v[124:127], a[120:121], v[216:217], 0// 000000003DA4: D3F3007C 0A03B178
	v_mfma_f32_16x16x32_fp8_fp8 v[124:127], a[122:123], v[218:219], v[124:127]// 000000003DAC: D3F3007C 0DF3B57A
	buffer_load_dwordx4 a[60:63], v47, s[24:27], 0 offen offset:3072// 000000003DB4: E05C1C00 80863C2F
	v_mfma_f32_16x16x32_fp8_fp8 v[124:127], a[124:125], v[220:221], v[124:127]// 000000003DBC: D3F3007C 0DF3B97C
	v_mfma_f32_16x16x32_fp8_fp8 v[124:127], a[126:127], v[222:223], v[124:127]// 000000003DC4: D3F3007C 0DF3BD7E
	ds_read_b128 v[252:255], v2 offset:10560                   // 000000003DCC: D9FE2940 FC000002
	v_mul_f32_dpp v56, v24, v17 row_newbcast:2 row_mask:0xf bank_mask:0xf// 000000003DD4: 0A7022FA FF015218
	v_mov_b32_e32 v57, v56                                     // 000000003DDC: 7E720338
	v_pk_fma_f32 v[64:65], v[96:97], v[56:57], v[64:65]        // 000000003DE0: D3B04040 1D027160
	v_pk_fma_f32 v[66:67], v[98:99], v[56:57], v[66:67]        // 000000003DE8: D3B04042 1D0A7162
	v_pk_fma_f32 v[72:73], v[104:105], v[56:57], v[72:73]      // 000000003DF0: D3B04048 1D227168
	v_pk_fma_f32 v[74:75], v[106:107], v[56:57], v[74:75]      // 000000003DF8: D3B0404A 1D2A716A
	v_mul_f32_dpp v56, v24, v17 row_newbcast:3 row_mask:0xf bank_mask:0xf// 000000003E00: 0A7022FA FF015318
	v_mov_b32_e32 v57, v56                                     // 000000003E08: 7E720338
	v_pk_fma_f32 v[80:81], v[112:113], v[56:57], v[80:81]      // 000000003E0C: D3B04050 1D427170
	v_pk_fma_f32 v[82:83], v[114:115], v[56:57], v[82:83]      // 000000003E14: D3B04052 1D4A7172
	v_pk_fma_f32 v[88:89], v[120:121], v[56:57], v[88:89]      // 000000003E1C: D3B04058 1D627178
	v_pk_fma_f32 v[90:91], v[122:123], v[56:57], v[90:91]      // 000000003E24: D3B0405A 1D6A717A
	v_mul_f32_dpp v56, v24, v18 row_newbcast:2 row_mask:0xf bank_mask:0xf// 000000003E2C: 0A7024FA FF015218
	v_mov_b32_e32 v57, v56                                     // 000000003E34: 7E720338
	v_pk_fma_f32 v[68:69], v[100:101], v[56:57], v[68:69]      // 000000003E38: D3B04044 1D127164
	v_pk_fma_f32 v[70:71], v[102:103], v[56:57], v[70:71]      // 000000003E40: D3B04046 1D1A7166
	v_pk_fma_f32 v[76:77], v[108:109], v[56:57], v[76:77]      // 000000003E48: D3B0404C 1D32716C
	v_pk_fma_f32 v[78:79], v[110:111], v[56:57], v[78:79]      // 000000003E50: D3B0404E 1D3A716E
	v_mul_f32_dpp v56, v24, v18 row_newbcast:3 row_mask:0xf bank_mask:0xf// 000000003E58: 0A7024FA FF015318
	v_mov_b32_e32 v57, v56                                     // 000000003E60: 7E720338
	v_pk_fma_f32 v[84:85], v[116:117], v[56:57], v[84:85]      // 000000003E64: D3B04054 1D527174
	v_pk_fma_f32 v[86:87], v[118:119], v[56:57], v[86:87]      // 000000003E6C: D3B04056 1D5A7176
	v_pk_fma_f32 v[92:93], v[124:125], v[56:57], v[92:93]      // 000000003E74: D3B0405C 1D72717C
	v_pk_fma_f32 v[94:95], v[126:127], v[56:57], v[94:95]      // 000000003E7C: D3B0405E 1D7A717E
	s_add_u32 s60, 0x200, s80                                  // 000000003E84: 803C50FF 00000200
	s_cmp_lt_u32 s60, s81                                      // 000000003E8C: BF0A513C
	s_cselect_b32 s57, s57, 0                                  // 000000003E90: 85398039
	s_cselect_b32 s3, s3, 0                                    // 000000003E94: 85038003
	s_add_u32 s60, 0x200, s80                                  // 000000003E98: 803C50FF 00000200
	s_cmp_lt_u32 s60, s81                                      // 000000003EA0: BF0A513C
	s_cselect_b32 s58, s58, 0                                  // 000000003EA4: 853A803A
	s_add_u32 s20, s57, s20                                    // 000000003EA8: 80141439
	s_addc_u32 s21, 0, s21                                     // 000000003EAC: 82151580
	s_add_u32 s28, s3, s28                                     // 000000003EB0: 801C1C03
	s_addc_u32 s29, 0, s29                                     // 000000003EB4: 821D1D80
	s_add_u32 s24, s58, s24                                    // 000000003EB8: 8018183A
	s_addc_u32 s25, 0, s25                                     // 000000003EBC: 82191980
	s_add_u32 s92, s90, s92                                    // 000000003EC0: 805C5C5A
	s_addc_u32 s93, 0, s93                                     // 000000003EC4: 825D5D80
	s_addk_i32 s80, 0x100                                      // 000000003EC8: B7500100
	s_cmp_lt_i32 s80, s81                                      // 000000003ECC: BF045150
	s_cbranch_scc0 label_0746                                  // 000000003ED0: BF840251
	s_waitcnt vmcnt(8) lgkmcnt(0)                              // 000000003ED4: BF8C0078
	s_barrier                                                  // 000000003ED8: BF8A0000
	v_mfma_f32_16x16x32_fp8_fp8 v[160:163], a[0:1], v[224:225], 0// 000000003EDC: D3F300A0 0A03C100
	v_mfma_f32_16x16x32_fp8_fp8 v[160:163], a[2:3], v[226:227], v[160:163]// 000000003EE4: D3F300A0 0E83C502
	buffer_load_dwordx4 a[64:67], v44, s[92:95], 0 offen       // 000000003EEC: E05C1000 8097402C
	v_mfma_f32_16x16x32_fp8_fp8 v[160:163], a[4:5], v[228:229], v[160:163]// 000000003EF4: D3F300A0 0E83C904
	v_mfma_f32_16x16x32_fp8_fp8 v[160:163], a[6:7], v[230:231], v[160:163]// 000000003EFC: D3F300A0 0E83CD06
	buffer_load_dword v36, s[20:23], 0 offen lds               // 000000003F04: E0511000 80050024
	s_add_u32 m0, 0x100, s50                                   // 000000003F0C: 807C32FF 00000100
	v_mfma_f32_16x16x32_fp8_fp8 v[164:167], a[0:1], v[240:241], 0// 000000003F14: D3F300A4 0A03E100
	v_mfma_f32_16x16x32_fp8_fp8 v[164:167], a[2:3], v[242:243], v[164:167]// 000000003F1C: D3F300A4 0E93E502
	buffer_load_dwordx4 a[68:71], v44, s[92:95], 0 offen offset:1024// 000000003F24: E05C1400 8097442C
	v_mfma_f32_16x16x32_fp8_fp8 v[164:167], a[4:5], v[244:245], v[164:167]// 000000003F2C: D3F300A4 0E93E904
	v_mfma_f32_16x16x32_fp8_fp8 v[164:167], a[6:7], v[246:247], v[164:167]// 000000003F34: D3F300A4 0E93ED06
	buffer_load_dword v37, s[20:23], 0 offen lds               // 000000003F3C: E0511000 80050025
	s_add_u32 m0, 0x200, s50                                   // 000000003F44: 807C32FF 00000200
	v_mfma_f32_16x16x32_fp8_fp8 v[168:171], a[16:17], v[224:225], 0// 000000003F4C: D3F300A8 0A03C110
	v_mfma_f32_16x16x32_fp8_fp8 v[168:171], a[18:19], v[226:227], v[168:171]// 000000003F54: D3F300A8 0EA3C512
	buffer_load_dwordx4 a[80:83], v45, s[92:95], 0 offen       // 000000003F5C: E05C1000 8097502D
	v_mfma_f32_16x16x32_fp8_fp8 v[168:171], a[20:21], v[228:229], v[168:171]// 000000003F64: D3F300A8 0EA3C914
	v_mfma_f32_16x16x32_fp8_fp8 v[168:171], a[22:23], v[230:231], v[168:171]// 000000003F6C: D3F300A8 0EA3CD16
	buffer_load_dword v38, s[20:23], 0 offen lds               // 000000003F74: E0511000 80050026
	s_add_u32 m0, 0x300, s50                                   // 000000003F7C: 807C32FF 00000300
	v_mfma_f32_16x16x32_fp8_fp8 v[172:175], a[16:17], v[240:241], 0// 000000003F84: D3F300AC 0A03E110
	v_mfma_f32_16x16x32_fp8_fp8 v[172:175], a[18:19], v[242:243], v[172:175]// 000000003F8C: D3F300AC 0EB3E512
	buffer_load_dwordx4 a[84:87], v45, s[92:95], 0 offen offset:1024// 000000003F94: E05C1400 8097542D
	v_mfma_f32_16x16x32_fp8_fp8 v[172:175], a[20:21], v[244:245], v[172:175]// 000000003F9C: D3F300AC 0EB3E914
	v_mfma_f32_16x16x32_fp8_fp8 v[172:175], a[22:23], v[246:247], v[172:175]// 000000003FA4: D3F300AC 0EB3ED16
	buffer_load_dword v39, s[20:23], 0 offen lds               // 000000003FAC: E0511000 80050027
	s_add_u32 m0, 0x400, s50                                   // 000000003FB4: 807C32FF 00000400
	v_mfma_f32_16x16x32_fp8_fp8 v[176:179], a[32:33], v[224:225], 0// 000000003FBC: D3F300B0 0A03C120
	v_mfma_f32_16x16x32_fp8_fp8 v[176:179], a[34:35], v[226:227], v[176:179]// 000000003FC4: D3F300B0 0EC3C522
	buffer_load_dwordx4 a[96:99], v46, s[92:95], 0 offen       // 000000003FCC: E05C1000 8097602E
	v_mfma_f32_16x16x32_fp8_fp8 v[176:179], a[36:37], v[228:229], v[176:179]// 000000003FD4: D3F300B0 0EC3C924
	v_mfma_f32_16x16x32_fp8_fp8 v[176:179], a[38:39], v[230:231], v[176:179]// 000000003FDC: D3F300B0 0EC3CD26
	buffer_load_dword v40, s[20:23], 0 offen lds               // 000000003FE4: E0511000 80050028
	s_add_u32 m0, 0x500, s50                                   // 000000003FEC: 807C32FF 00000500
	v_mfma_f32_16x16x32_fp8_fp8 v[180:183], a[32:33], v[240:241], 0// 000000003FF4: D3F300B4 0A03E120
	v_mfma_f32_16x16x32_fp8_fp8 v[180:183], a[34:35], v[242:243], v[180:183]// 000000003FFC: D3F300B4 0ED3E522
	buffer_load_dwordx4 a[100:103], v46, s[92:95], 0 offen offset:1024// 000000004004: E05C1400 8097642E
	v_mfma_f32_16x16x32_fp8_fp8 v[180:183], a[36:37], v[244:245], v[180:183]// 00000000400C: D3F300B4 0ED3E924
	v_mfma_f32_16x16x32_fp8_fp8 v[180:183], a[38:39], v[246:247], v[180:183]// 000000004014: D3F300B4 0ED3ED26
	buffer_load_dword v41, s[20:23], 0 offen lds               // 00000000401C: E0511000 80050029
	s_add_u32 m0, 0x600, s50                                   // 000000004024: 807C32FF 00000600
	v_mfma_f32_16x16x32_fp8_fp8 v[184:187], a[48:49], v[224:225], 0// 00000000402C: D3F300B8 0A03C130
	v_mfma_f32_16x16x32_fp8_fp8 v[184:187], a[50:51], v[226:227], v[184:187]// 000000004034: D3F300B8 0EE3C532
	buffer_load_dwordx4 a[112:115], v47, s[92:95], 0 offen     // 00000000403C: E05C1000 8097702F
	v_mfma_f32_16x16x32_fp8_fp8 v[184:187], a[52:53], v[228:229], v[184:187]// 000000004044: D3F300B8 0EE3C934
	v_mfma_f32_16x16x32_fp8_fp8 v[184:187], a[54:55], v[230:231], v[184:187]// 00000000404C: D3F300B8 0EE3CD36
	buffer_load_dword v42, s[20:23], 0 offen lds               // 000000004054: E0511000 8005002A
	s_add_u32 m0, 0x700, s50                                   // 00000000405C: 807C32FF 00000700
	v_mfma_f32_16x16x32_fp8_fp8 v[188:191], a[48:49], v[240:241], 0// 000000004064: D3F300BC 0A03E130
	v_mfma_f32_16x16x32_fp8_fp8 v[188:191], a[50:51], v[242:243], v[188:191]// 00000000406C: D3F300BC 0EF3E532
	buffer_load_dwordx4 a[116:119], v47, s[92:95], 0 offen offset:1024// 000000004074: E05C1400 8097742F
	v_mfma_f32_16x16x32_fp8_fp8 v[188:191], a[52:53], v[244:245], v[188:191]// 00000000407C: D3F300BC 0EF3E934
	v_mfma_f32_16x16x32_fp8_fp8 v[188:191], a[54:55], v[246:247], v[188:191]// 000000004084: D3F300BC 0EF3ED36
	buffer_load_dword v43, s[20:23], 0 offen lds               // 00000000408C: E0511000 8005002B
	s_add_u32 m0, s50, s76                                     // 000000004094: 807C4C32
	buffer_load_dword v7, s[28:31], 0 offen lds                // 000000004098: E0511000 80070007
	s_add_u32 m0, 0, s51                                       // 0000000040A0: 807C3380
	buffer_load_dword v24, v13, s[32:35], 0 offen              // 0000000040A4: E0501000 8008180D
	v_mul_f32_dpp v56, v23, v19 row_newbcast:0 row_mask:0xf bank_mask:0xf// 0000000040AC: 0A7026FA FF015017
	v_mov_b32_e32 v57, v56                                     // 0000000040B4: 7E720338
	v_pk_fma_f32 v[128:129], v[160:161], v[56:57], v[128:129]  // 0000000040B8: D3B04080 1E0271A0
	v_pk_fma_f32 v[130:131], v[162:163], v[56:57], v[130:131]  // 0000000040C0: D3B04082 1E0A71A2
	v_pk_fma_f32 v[136:137], v[168:169], v[56:57], v[136:137]  // 0000000040C8: D3B04088 1E2271A8
	v_pk_fma_f32 v[138:139], v[170:171], v[56:57], v[138:139]  // 0000000040D0: D3B0408A 1E2A71AA
	v_mul_f32_dpp v56, v23, v19 row_newbcast:1 row_mask:0xf bank_mask:0xf// 0000000040D8: 0A7026FA FF015117
	v_mov_b32_e32 v57, v56                                     // 0000000040E0: 7E720338
	v_pk_fma_f32 v[144:145], v[176:177], v[56:57], v[144:145]  // 0000000040E4: D3B04090 1E4271B0
	v_pk_fma_f32 v[146:147], v[178:179], v[56:57], v[146:147]  // 0000000040EC: D3B04092 1E4A71B2
	v_pk_fma_f32 v[152:153], v[184:185], v[56:57], v[152:153]  // 0000000040F4: D3B04098 1E6271B8
	v_pk_fma_f32 v[154:155], v[186:187], v[56:57], v[154:155]  // 0000000040FC: D3B0409A 1E6A71BA
	v_mul_f32_dpp v56, v23, v20 row_newbcast:0 row_mask:0xf bank_mask:0xf// 000000004104: 0A7028FA FF015017
	v_mov_b32_e32 v57, v56                                     // 00000000410C: 7E720338
	v_pk_fma_f32 v[132:133], v[164:165], v[56:57], v[132:133]  // 000000004110: D3B04084 1E1271A4
	v_pk_fma_f32 v[134:135], v[166:167], v[56:57], v[134:135]  // 000000004118: D3B04086 1E1A71A6
	v_pk_fma_f32 v[140:141], v[172:173], v[56:57], v[140:141]  // 000000004120: D3B0408C 1E3271AC
	v_pk_fma_f32 v[142:143], v[174:175], v[56:57], v[142:143]  // 000000004128: D3B0408E 1E3A71AE
	v_mul_f32_dpp v56, v23, v20 row_newbcast:1 row_mask:0xf bank_mask:0xf// 000000004130: 0A7028FA FF015117
	v_mov_b32_e32 v57, v56                                     // 000000004138: 7E720338
	v_pk_fma_f32 v[148:149], v[180:181], v[56:57], v[148:149]  // 00000000413C: D3B04094 1E5271B4
	v_pk_fma_f32 v[150:151], v[182:183], v[56:57], v[150:151]  // 000000004144: D3B04096 1E5A71B6
	v_pk_fma_f32 v[156:157], v[188:189], v[56:57], v[156:157]  // 00000000414C: D3B0409C 1E7271BC
	v_pk_fma_f32 v[158:159], v[190:191], v[56:57], v[158:159]  // 000000004154: D3B0409E 1E7A71BE
	s_waitcnt vmcnt(22)                                        // 00000000415C: BF8C4F76
	v_mfma_f32_16x16x32_fp8_fp8 v[160:163], a[8:9], v[232:233], 0// 000000004160: D3F300A0 0A03D108
	v_mfma_f32_16x16x32_fp8_fp8 v[160:163], a[10:11], v[234:235], v[160:163]// 000000004168: D3F300A0 0E83D50A
	buffer_load_dwordx4 a[72:75], v44, s[92:95], 0 offen offset:2048// 000000004170: E05C1800 8097482C
	v_mfma_f32_16x16x32_fp8_fp8 v[160:163], a[12:13], v[236:237], v[160:163]// 000000004178: D3F300A0 0E83D90C
	v_mfma_f32_16x16x32_fp8_fp8 v[160:163], a[14:15], v[238:239], v[160:163]// 000000004180: D3F300A0 0E83DD0E
	v_mfma_f32_16x16x32_fp8_fp8 v[164:167], a[8:9], v[248:249], 0// 000000004188: D3F300A4 0A03F108
	v_mfma_f32_16x16x32_fp8_fp8 v[164:167], a[10:11], v[250:251], v[164:167]// 000000004190: D3F300A4 0E93F50A
	buffer_load_dwordx4 a[76:79], v44, s[92:95], 0 offen offset:3072// 000000004198: E05C1C00 80974C2C
	v_mfma_f32_16x16x32_fp8_fp8 v[164:167], a[12:13], v[252:253], v[164:167]// 0000000041A0: D3F300A4 0E93F90C
	v_mfma_f32_16x16x32_fp8_fp8 v[164:167], a[14:15], v[254:255], v[164:167]// 0000000041A8: D3F300A4 0E93FD0E
	v_mfma_f32_16x16x32_fp8_fp8 v[168:171], a[24:25], v[232:233], 0// 0000000041B0: D3F300A8 0A03D118
	v_mfma_f32_16x16x32_fp8_fp8 v[168:171], a[26:27], v[234:235], v[168:171]// 0000000041B8: D3F300A8 0EA3D51A
	buffer_load_dwordx4 a[88:91], v45, s[92:95], 0 offen offset:2048// 0000000041C0: E05C1800 8097582D
	v_mfma_f32_16x16x32_fp8_fp8 v[168:171], a[28:29], v[236:237], v[168:171]// 0000000041C8: D3F300A8 0EA3D91C
	v_mfma_f32_16x16x32_fp8_fp8 v[168:171], a[30:31], v[238:239], v[168:171]// 0000000041D0: D3F300A8 0EA3DD1E
	v_mfma_f32_16x16x32_fp8_fp8 v[172:175], a[24:25], v[248:249], 0// 0000000041D8: D3F300AC 0A03F118
	v_mfma_f32_16x16x32_fp8_fp8 v[172:175], a[26:27], v[250:251], v[172:175]// 0000000041E0: D3F300AC 0EB3F51A
	buffer_load_dwordx4 a[92:95], v45, s[92:95], 0 offen offset:3072// 0000000041E8: E05C1C00 80975C2D
	v_mfma_f32_16x16x32_fp8_fp8 v[172:175], a[28:29], v[252:253], v[172:175]// 0000000041F0: D3F300AC 0EB3F91C
	v_mfma_f32_16x16x32_fp8_fp8 v[172:175], a[30:31], v[254:255], v[172:175]// 0000000041F8: D3F300AC 0EB3FD1E
	s_waitcnt vmcnt(22)                                        // 000000004200: BF8C4F76
	v_mfma_f32_16x16x32_fp8_fp8 v[176:179], a[40:41], v[232:233], 0// 000000004204: D3F300B0 0A03D128
	v_mfma_f32_16x16x32_fp8_fp8 v[176:179], a[42:43], v[234:235], v[176:179]// 00000000420C: D3F300B0 0EC3D52A
	buffer_load_dwordx4 a[104:107], v46, s[92:95], 0 offen offset:2048// 000000004214: E05C1800 8097682E
	v_mfma_f32_16x16x32_fp8_fp8 v[176:179], a[44:45], v[236:237], v[176:179]// 00000000421C: D3F300B0 0EC3D92C
	v_mfma_f32_16x16x32_fp8_fp8 v[176:179], a[46:47], v[238:239], v[176:179]// 000000004224: D3F300B0 0EC3DD2E
	v_mfma_f32_16x16x32_fp8_fp8 v[180:183], a[40:41], v[248:249], 0// 00000000422C: D3F300B4 0A03F128
	v_mfma_f32_16x16x32_fp8_fp8 v[180:183], a[42:43], v[250:251], v[180:183]// 000000004234: D3F300B4 0ED3F52A
	buffer_load_dwordx4 a[108:111], v46, s[92:95], 0 offen offset:3072// 00000000423C: E05C1C00 80976C2E
	v_mfma_f32_16x16x32_fp8_fp8 v[180:183], a[44:45], v[252:253], v[180:183]// 000000004244: D3F300B4 0ED3F92C
	v_mfma_f32_16x16x32_fp8_fp8 v[180:183], a[46:47], v[254:255], v[180:183]// 00000000424C: D3F300B4 0ED3FD2E
	v_mfma_f32_16x16x32_fp8_fp8 v[184:187], a[56:57], v[232:233], 0// 000000004254: D3F300B8 0A03D138
	v_mfma_f32_16x16x32_fp8_fp8 v[184:187], a[58:59], v[234:235], v[184:187]// 00000000425C: D3F300B8 0EE3D53A
	buffer_load_dwordx4 a[120:123], v47, s[92:95], 0 offen offset:2048// 000000004264: E05C1800 8097782F
	v_mfma_f32_16x16x32_fp8_fp8 v[184:187], a[60:61], v[236:237], v[184:187]// 00000000426C: D3F300B8 0EE3D93C
	v_mfma_f32_16x16x32_fp8_fp8 v[184:187], a[62:63], v[238:239], v[184:187]// 000000004274: D3F300B8 0EE3DD3E
	v_mfma_f32_16x16x32_fp8_fp8 v[188:191], a[56:57], v[248:249], 0// 00000000427C: D3F300BC 0A03F138
	v_mfma_f32_16x16x32_fp8_fp8 v[188:191], a[58:59], v[250:251], v[188:191]// 000000004284: D3F300BC 0EF3F53A
	buffer_load_dwordx4 a[124:127], v47, s[92:95], 0 offen offset:3072// 00000000428C: E05C1C00 80977C2F
	v_mfma_f32_16x16x32_fp8_fp8 v[188:191], a[60:61], v[252:253], v[188:191]// 000000004294: D3F300BC 0EF3F93C
	v_mfma_f32_16x16x32_fp8_fp8 v[188:191], a[62:63], v[254:255], v[188:191]// 00000000429C: D3F300BC 0EF3FD3E
	v_mul_f32_dpp v56, v23, v21 row_newbcast:2 row_mask:0xf bank_mask:0xf// 0000000042A4: 0A702AFA FF015217
	v_mov_b32_e32 v57, v56                                     // 0000000042AC: 7E720338
	v_pk_fma_f32 v[128:129], v[160:161], v[56:57], v[128:129]  // 0000000042B0: D3B04080 1E0271A0
	v_pk_fma_f32 v[130:131], v[162:163], v[56:57], v[130:131]  // 0000000042B8: D3B04082 1E0A71A2
	v_pk_fma_f32 v[136:137], v[168:169], v[56:57], v[136:137]  // 0000000042C0: D3B04088 1E2271A8
	v_pk_fma_f32 v[138:139], v[170:171], v[56:57], v[138:139]  // 0000000042C8: D3B0408A 1E2A71AA
	v_mul_f32_dpp v56, v23, v21 row_newbcast:3 row_mask:0xf bank_mask:0xf// 0000000042D0: 0A702AFA FF015317
	v_mov_b32_e32 v57, v56                                     // 0000000042D8: 7E720338
	v_pk_fma_f32 v[144:145], v[176:177], v[56:57], v[144:145]  // 0000000042DC: D3B04090 1E4271B0
	v_pk_fma_f32 v[146:147], v[178:179], v[56:57], v[146:147]  // 0000000042E4: D3B04092 1E4A71B2
	v_pk_fma_f32 v[152:153], v[184:185], v[56:57], v[152:153]  // 0000000042EC: D3B04098 1E6271B8
	v_pk_fma_f32 v[154:155], v[186:187], v[56:57], v[154:155]  // 0000000042F4: D3B0409A 1E6A71BA
	v_mul_f32_dpp v56, v23, v22 row_newbcast:2 row_mask:0xf bank_mask:0xf// 0000000042FC: 0A702CFA FF015217
	v_mov_b32_e32 v57, v56                                     // 000000004304: 7E720338
	v_pk_fma_f32 v[132:133], v[164:165], v[56:57], v[132:133]  // 000000004308: D3B04084 1E1271A4
	v_pk_fma_f32 v[134:135], v[166:167], v[56:57], v[134:135]  // 000000004310: D3B04086 1E1A71A6
	v_pk_fma_f32 v[140:141], v[172:173], v[56:57], v[140:141]  // 000000004318: D3B0408C 1E3271AC
	v_pk_fma_f32 v[142:143], v[174:175], v[56:57], v[142:143]  // 000000004320: D3B0408E 1E3A71AE
	v_mul_f32_dpp v56, v23, v22 row_newbcast:3 row_mask:0xf bank_mask:0xf// 000000004328: 0A702CFA FF015317
	v_mov_b32_e32 v57, v56                                     // 000000004330: 7E720338
	v_pk_fma_f32 v[148:149], v[180:181], v[56:57], v[148:149]  // 000000004334: D3B04094 1E5271B4
	v_pk_fma_f32 v[150:151], v[182:183], v[56:57], v[150:151]  // 00000000433C: D3B04096 1E5A71B6
	v_pk_fma_f32 v[156:157], v[188:189], v[56:57], v[156:157]  // 000000004344: D3B0409C 1E7271BC
	v_pk_fma_f32 v[158:159], v[190:191], v[56:57], v[158:159]  // 00000000434C: D3B0409E 1E7A71BE
	s_add_u32 s60, 0x100, s80                                  // 000000004354: 803C50FF 00000100
	s_cmp_lt_u32 s60, s81                                      // 00000000435C: BF0A513C
	s_cselect_b32 s4, s4, 0                                    // 000000004360: 85048004
	s_add_u32 s32, s4, s32                                     // 000000004364: 80202004
	s_addc_u32 s33, 0, s33                                     // 000000004368: 82212180
	s_waitcnt vmcnt(8)                                         // 00000000436C: BF8C0F78
	s_barrier                                                  // 000000004370: BF8A0000
	v_mfma_f32_16x16x32_fp8_fp8 v[96:99], a[64:65], v[224:225], 0// 000000004374: D3F30060 0A03C140
	v_mfma_f32_16x16x32_fp8_fp8 v[96:99], a[66:67], v[226:227], v[96:99]// 00000000437C: D3F30060 0D83C542
	buffer_load_dwordx4 a[0:3], v44, s[24:27], 0 offen         // 000000004384: E05C1000 8086002C
	v_mfma_f32_16x16x32_fp8_fp8 v[96:99], a[68:69], v[228:229], v[96:99]// 00000000438C: D3F30060 0D83C944
	v_mfma_f32_16x16x32_fp8_fp8 v[96:99], a[70:71], v[230:231], v[96:99]// 000000004394: D3F30060 0D83CD46
	buffer_load_dword v23, v11, s[32:35], 0 offen              // 00000000439C: E0501000 8008170B
	v_mfma_f32_16x16x32_fp8_fp8 v[100:103], a[64:65], v[240:241], 0// 0000000043A4: D3F30064 0A03E140
	v_mfma_f32_16x16x32_fp8_fp8 v[100:103], a[66:67], v[242:243], v[100:103]// 0000000043AC: D3F30064 0D93E542
	buffer_load_dwordx4 a[4:7], v44, s[24:27], 0 offen offset:1024// 0000000043B4: E05C1400 8086042C
	v_mfma_f32_16x16x32_fp8_fp8 v[100:103], a[68:69], v[244:245], v[100:103]// 0000000043BC: D3F30064 0D93E944
	v_mfma_f32_16x16x32_fp8_fp8 v[100:103], a[70:71], v[246:247], v[100:103]// 0000000043C4: D3F30064 0D93ED46
	v_mfma_f32_16x16x32_fp8_fp8 v[104:107], a[80:81], v[224:225], 0// 0000000043CC: D3F30068 0A03C150
	v_mfma_f32_16x16x32_fp8_fp8 v[104:107], a[82:83], v[226:227], v[104:107]// 0000000043D4: D3F30068 0DA3C552
	buffer_load_dwordx4 a[16:19], v45, s[24:27], 0 offen       // 0000000043DC: E05C1000 8086102D
	v_mfma_f32_16x16x32_fp8_fp8 v[104:107], a[84:85], v[228:229], v[104:107]// 0000000043E4: D3F30068 0DA3C954
	v_mfma_f32_16x16x32_fp8_fp8 v[104:107], a[86:87], v[230:231], v[104:107]// 0000000043EC: D3F30068 0DA3CD56
	v_mfma_f32_16x16x32_fp8_fp8 v[108:111], a[80:81], v[240:241], 0// 0000000043F4: D3F3006C 0A03E150
	v_mfma_f32_16x16x32_fp8_fp8 v[108:111], a[82:83], v[242:243], v[108:111]// 0000000043FC: D3F3006C 0DB3E552
	buffer_load_dwordx4 a[20:23], v45, s[24:27], 0 offen offset:1024// 000000004404: E05C1400 8086142D
	v_mfma_f32_16x16x32_fp8_fp8 v[108:111], a[84:85], v[244:245], v[108:111]// 00000000440C: D3F3006C 0DB3E954
	v_mfma_f32_16x16x32_fp8_fp8 v[108:111], a[86:87], v[246:247], v[108:111]// 000000004414: D3F3006C 0DB3ED56
	v_mfma_f32_16x16x32_fp8_fp8 v[112:115], a[96:97], v[224:225], 0// 00000000441C: D3F30070 0A03C160
	v_mfma_f32_16x16x32_fp8_fp8 v[112:115], a[98:99], v[226:227], v[112:115]// 000000004424: D3F30070 0DC3C562
	buffer_load_dwordx4 a[32:35], v46, s[24:27], 0 offen       // 00000000442C: E05C1000 8086202E
	v_mfma_f32_16x16x32_fp8_fp8 v[112:115], a[100:101], v[228:229], v[112:115]// 000000004434: D3F30070 0DC3C964
	v_mfma_f32_16x16x32_fp8_fp8 v[112:115], a[102:103], v[230:231], v[112:115]// 00000000443C: D3F30070 0DC3CD66
	v_mfma_f32_16x16x32_fp8_fp8 v[116:119], a[96:97], v[240:241], 0// 000000004444: D3F30074 0A03E160
	v_mfma_f32_16x16x32_fp8_fp8 v[116:119], a[98:99], v[242:243], v[116:119]// 00000000444C: D3F30074 0DD3E562
	buffer_load_dwordx4 a[36:39], v46, s[24:27], 0 offen offset:1024// 000000004454: E05C1400 8086242E
	v_mfma_f32_16x16x32_fp8_fp8 v[116:119], a[100:101], v[244:245], v[116:119]// 00000000445C: D3F30074 0DD3E964
	v_mfma_f32_16x16x32_fp8_fp8 v[116:119], a[102:103], v[246:247], v[116:119]// 000000004464: D3F30074 0DD3ED66
	v_mfma_f32_16x16x32_fp8_fp8 v[120:123], a[112:113], v[224:225], 0// 00000000446C: D3F30078 0A03C170
	v_mfma_f32_16x16x32_fp8_fp8 v[120:123], a[114:115], v[226:227], v[120:123]// 000000004474: D3F30078 0DE3C572
	buffer_load_dwordx4 a[48:51], v47, s[24:27], 0 offen       // 00000000447C: E05C1000 8086302F
	v_mfma_f32_16x16x32_fp8_fp8 v[120:123], a[116:117], v[228:229], v[120:123]// 000000004484: D3F30078 0DE3C974
	v_mfma_f32_16x16x32_fp8_fp8 v[120:123], a[118:119], v[230:231], v[120:123]// 00000000448C: D3F30078 0DE3CD76
	v_mfma_f32_16x16x32_fp8_fp8 v[124:127], a[112:113], v[240:241], 0// 000000004494: D3F3007C 0A03E170
	v_mfma_f32_16x16x32_fp8_fp8 v[124:127], a[114:115], v[242:243], v[124:127]// 00000000449C: D3F3007C 0DF3E572
	buffer_load_dwordx4 a[52:55], v47, s[24:27], 0 offen offset:1024// 0000000044A4: E05C1400 8086342F
	v_mfma_f32_16x16x32_fp8_fp8 v[124:127], a[116:117], v[244:245], v[124:127]// 0000000044AC: D3F3007C 0DF3E974
	v_mfma_f32_16x16x32_fp8_fp8 v[124:127], a[118:119], v[246:247], v[124:127]// 0000000044B4: D3F3007C 0DF3ED76
	v_mul_f32_dpp v56, v24, v19 row_newbcast:0 row_mask:0xf bank_mask:0xf// 0000000044BC: 0A7026FA FF015018
	v_mov_b32_e32 v57, v56                                     // 0000000044C4: 7E720338
	v_pk_fma_f32 v[64:65], v[96:97], v[56:57], v[64:65]        // 0000000044C8: D3B04040 1D027160
	v_pk_fma_f32 v[66:67], v[98:99], v[56:57], v[66:67]        // 0000000044D0: D3B04042 1D0A7162
	v_pk_fma_f32 v[72:73], v[104:105], v[56:57], v[72:73]      // 0000000044D8: D3B04048 1D227168
	v_pk_fma_f32 v[74:75], v[106:107], v[56:57], v[74:75]      // 0000000044E0: D3B0404A 1D2A716A
	v_mul_f32_dpp v56, v24, v19 row_newbcast:1 row_mask:0xf bank_mask:0xf// 0000000044E8: 0A7026FA FF015118
	v_mov_b32_e32 v57, v56                                     // 0000000044F0: 7E720338
	v_pk_fma_f32 v[80:81], v[112:113], v[56:57], v[80:81]      // 0000000044F4: D3B04050 1D427170
	v_pk_fma_f32 v[82:83], v[114:115], v[56:57], v[82:83]      // 0000000044FC: D3B04052 1D4A7172
	v_pk_fma_f32 v[88:89], v[120:121], v[56:57], v[88:89]      // 000000004504: D3B04058 1D627178
	v_pk_fma_f32 v[90:91], v[122:123], v[56:57], v[90:91]      // 00000000450C: D3B0405A 1D6A717A
	v_mul_f32_dpp v56, v24, v20 row_newbcast:0 row_mask:0xf bank_mask:0xf// 000000004514: 0A7028FA FF015018
	v_mov_b32_e32 v57, v56                                     // 00000000451C: 7E720338
	v_pk_fma_f32 v[68:69], v[100:101], v[56:57], v[68:69]      // 000000004520: D3B04044 1D127164
	v_pk_fma_f32 v[70:71], v[102:103], v[56:57], v[70:71]      // 000000004528: D3B04046 1D1A7166
	v_pk_fma_f32 v[76:77], v[108:109], v[56:57], v[76:77]      // 000000004530: D3B0404C 1D32716C
	v_pk_fma_f32 v[78:79], v[110:111], v[56:57], v[78:79]      // 000000004538: D3B0404E 1D3A716E
	v_mul_f32_dpp v56, v24, v20 row_newbcast:1 row_mask:0xf bank_mask:0xf// 000000004540: 0A7028FA FF015118
	v_mov_b32_e32 v57, v56                                     // 000000004548: 7E720338
	v_pk_fma_f32 v[84:85], v[116:117], v[56:57], v[84:85]      // 00000000454C: D3B04054 1D527174
	v_pk_fma_f32 v[86:87], v[118:119], v[56:57], v[86:87]      // 000000004554: D3B04056 1D5A7176
	v_pk_fma_f32 v[92:93], v[124:125], v[56:57], v[92:93]      // 00000000455C: D3B0405C 1D72717C
	v_pk_fma_f32 v[94:95], v[126:127], v[56:57], v[94:95]      // 000000004564: D3B0405E 1D7A717E
	s_waitcnt vmcnt(13)                                        // 00000000456C: BF8C0F7D
	v_mfma_f32_16x16x32_fp8_fp8 v[96:99], a[72:73], v[232:233], 0// 000000004570: D3F30060 0A03D148
	v_mfma_f32_16x16x32_fp8_fp8 v[96:99], a[74:75], v[234:235], v[96:99]// 000000004578: D3F30060 0D83D54A
	buffer_load_dwordx4 a[8:11], v44, s[24:27], 0 offen offset:2048// 000000004580: E05C1800 8086082C
	v_mfma_f32_16x16x32_fp8_fp8 v[96:99], a[76:77], v[236:237], v[96:99]// 000000004588: D3F30060 0D83D94C
	v_mfma_f32_16x16x32_fp8_fp8 v[96:99], a[78:79], v[238:239], v[96:99]// 000000004590: D3F30060 0D83DD4E
	ds_read_b128 v[192:195], v2                                // 000000004598: D9FE0000 C0000002
	ds_read_b32 v15, v3 offset:8320                            // 0000000045A0: D86C2080 0F000003
	v_mfma_f32_16x16x32_fp8_fp8 v[100:103], a[72:73], v[248:249], 0// 0000000045A8: D3F30064 0A03F148
	v_mfma_f32_16x16x32_fp8_fp8 v[100:103], a[74:75], v[250:251], v[100:103]// 0000000045B0: D3F30064 0D93F54A
	buffer_load_dwordx4 a[12:15], v44, s[24:27], 0 offen offset:3072// 0000000045B8: E05C1C00 80860C2C
	v_mfma_f32_16x16x32_fp8_fp8 v[100:103], a[76:77], v[252:253], v[100:103]// 0000000045C0: D3F30064 0D93F94C
	v_mfma_f32_16x16x32_fp8_fp8 v[100:103], a[78:79], v[254:255], v[100:103]// 0000000045C8: D3F30064 0D93FD4E
	ds_read_b128 v[196:199], v2 offset:64                      // 0000000045D0: D9FE0040 C4000002
	ds_read_b32 v16, v3 offset:8576                            // 0000000045D8: D86C2180 10000003
	v_mfma_f32_16x16x32_fp8_fp8 v[104:107], a[88:89], v[232:233], 0// 0000000045E0: D3F30068 0A03D158
	v_mfma_f32_16x16x32_fp8_fp8 v[104:107], a[90:91], v[234:235], v[104:107]// 0000000045E8: D3F30068 0DA3D55A
	buffer_load_dwordx4 a[24:27], v45, s[24:27], 0 offen offset:2048// 0000000045F0: E05C1800 8086182D
	v_mfma_f32_16x16x32_fp8_fp8 v[104:107], a[92:93], v[236:237], v[104:107]// 0000000045F8: D3F30068 0DA3D95C
	v_mfma_f32_16x16x32_fp8_fp8 v[104:107], a[94:95], v[238:239], v[104:107]// 000000004600: D3F30068 0DA3DD5E
	ds_read_b128 v[200:203], v2 offset:128                     // 000000004608: D9FE0080 C8000002
	ds_read_b32 v17, v3 offset:8832                            // 000000004610: D86C2280 11000003
	v_mfma_f32_16x16x32_fp8_fp8 v[108:111], a[88:89], v[248:249], 0// 000000004618: D3F3006C 0A03F158
	v_mfma_f32_16x16x32_fp8_fp8 v[108:111], a[90:91], v[250:251], v[108:111]// 000000004620: D3F3006C 0DB3F55A
	buffer_load_dwordx4 a[28:31], v45, s[24:27], 0 offen offset:3072// 000000004628: E05C1C00 80861C2D
	v_mfma_f32_16x16x32_fp8_fp8 v[108:111], a[92:93], v[252:253], v[108:111]// 000000004630: D3F3006C 0DB3F95C
	v_mfma_f32_16x16x32_fp8_fp8 v[108:111], a[94:95], v[254:255], v[108:111]// 000000004638: D3F3006C 0DB3FD5E
	ds_read_b128 v[204:207], v2 offset:192                     // 000000004640: D9FE00C0 CC000002
	ds_read_b32 v18, v3 offset:9088                            // 000000004648: D86C2380 12000003
	s_waitcnt vmcnt(13)                                        // 000000004650: BF8C0F7D
	v_mfma_f32_16x16x32_fp8_fp8 v[112:115], a[104:105], v[232:233], 0// 000000004654: D3F30070 0A03D168
	v_mfma_f32_16x16x32_fp8_fp8 v[112:115], a[106:107], v[234:235], v[112:115]// 00000000465C: D3F30070 0DC3D56A
	buffer_load_dwordx4 a[40:43], v46, s[24:27], 0 offen offset:2048// 000000004664: E05C1800 8086282E
	v_mfma_f32_16x16x32_fp8_fp8 v[112:115], a[108:109], v[236:237], v[112:115]// 00000000466C: D3F30070 0DC3D96C
	v_mfma_f32_16x16x32_fp8_fp8 v[112:115], a[110:111], v[238:239], v[112:115]// 000000004674: D3F30070 0DC3DD6E
	ds_read_b128 v[208:211], v2 offset:1024                    // 00000000467C: D9FE0400 D0000002
	v_mfma_f32_16x16x32_fp8_fp8 v[116:119], a[104:105], v[248:249], 0// 000000004684: D3F30074 0A03F168
	v_mfma_f32_16x16x32_fp8_fp8 v[116:119], a[106:107], v[250:251], v[116:119]// 00000000468C: D3F30074 0DD3F56A
	buffer_load_dwordx4 a[44:47], v46, s[24:27], 0 offen offset:3072// 000000004694: E05C1C00 80862C2E
	v_mfma_f32_16x16x32_fp8_fp8 v[116:119], a[108:109], v[252:253], v[116:119]// 00000000469C: D3F30074 0DD3F96C
	v_mfma_f32_16x16x32_fp8_fp8 v[116:119], a[110:111], v[254:255], v[116:119]// 0000000046A4: D3F30074 0DD3FD6E
	ds_read_b128 v[212:215], v2 offset:1088                    // 0000000046AC: D9FE0440 D4000002
	v_mfma_f32_16x16x32_fp8_fp8 v[120:123], a[120:121], v[232:233], 0// 0000000046B4: D3F30078 0A03D178
	v_mfma_f32_16x16x32_fp8_fp8 v[120:123], a[122:123], v[234:235], v[120:123]// 0000000046BC: D3F30078 0DE3D57A
	buffer_load_dwordx4 a[56:59], v47, s[24:27], 0 offen offset:2048// 0000000046C4: E05C1800 8086382F
	v_mfma_f32_16x16x32_fp8_fp8 v[120:123], a[124:125], v[236:237], v[120:123]// 0000000046CC: D3F30078 0DE3D97C
	v_mfma_f32_16x16x32_fp8_fp8 v[120:123], a[126:127], v[238:239], v[120:123]// 0000000046D4: D3F30078 0DE3DD7E
	ds_read_b128 v[216:219], v2 offset:1152                    // 0000000046DC: D9FE0480 D8000002
	v_mfma_f32_16x16x32_fp8_fp8 v[124:127], a[120:121], v[248:249], 0// 0000000046E4: D3F3007C 0A03F178
	v_mfma_f32_16x16x32_fp8_fp8 v[124:127], a[122:123], v[250:251], v[124:127]// 0000000046EC: D3F3007C 0DF3F57A
	buffer_load_dwordx4 a[60:63], v47, s[24:27], 0 offen offset:3072// 0000000046F4: E05C1C00 80863C2F
	v_mfma_f32_16x16x32_fp8_fp8 v[124:127], a[124:125], v[252:253], v[124:127]// 0000000046FC: D3F3007C 0DF3F97C
	v_mfma_f32_16x16x32_fp8_fp8 v[124:127], a[126:127], v[254:255], v[124:127]// 000000004704: D3F3007C 0DF3FD7E
	ds_read_b128 v[220:223], v2 offset:1216                    // 00000000470C: D9FE04C0 DC000002
	v_mul_f32_dpp v56, v24, v21 row_newbcast:2 row_mask:0xf bank_mask:0xf// 000000004714: 0A702AFA FF015218
	v_mov_b32_e32 v57, v56                                     // 00000000471C: 7E720338
	v_pk_fma_f32 v[64:65], v[96:97], v[56:57], v[64:65]        // 000000004720: D3B04040 1D027160
	v_pk_fma_f32 v[66:67], v[98:99], v[56:57], v[66:67]        // 000000004728: D3B04042 1D0A7162
	v_pk_fma_f32 v[72:73], v[104:105], v[56:57], v[72:73]      // 000000004730: D3B04048 1D227168
	v_pk_fma_f32 v[74:75], v[106:107], v[56:57], v[74:75]      // 000000004738: D3B0404A 1D2A716A
	v_mul_f32_dpp v56, v24, v21 row_newbcast:3 row_mask:0xf bank_mask:0xf// 000000004740: 0A702AFA FF015318
	v_mov_b32_e32 v57, v56                                     // 000000004748: 7E720338
	v_pk_fma_f32 v[80:81], v[112:113], v[56:57], v[80:81]      // 00000000474C: D3B04050 1D427170
	v_pk_fma_f32 v[82:83], v[114:115], v[56:57], v[82:83]      // 000000004754: D3B04052 1D4A7172
	v_pk_fma_f32 v[88:89], v[120:121], v[56:57], v[88:89]      // 00000000475C: D3B04058 1D627178
	v_pk_fma_f32 v[90:91], v[122:123], v[56:57], v[90:91]      // 000000004764: D3B0405A 1D6A717A
	v_mul_f32_dpp v56, v24, v22 row_newbcast:2 row_mask:0xf bank_mask:0xf// 00000000476C: 0A702CFA FF015218
	v_mov_b32_e32 v57, v56                                     // 000000004774: 7E720338
	v_pk_fma_f32 v[68:69], v[100:101], v[56:57], v[68:69]      // 000000004778: D3B04044 1D127164
	v_pk_fma_f32 v[70:71], v[102:103], v[56:57], v[70:71]      // 000000004780: D3B04046 1D1A7166
	v_pk_fma_f32 v[76:77], v[108:109], v[56:57], v[76:77]      // 000000004788: D3B0404C 1D32716C
	v_pk_fma_f32 v[78:79], v[110:111], v[56:57], v[78:79]      // 000000004790: D3B0404E 1D3A716E
	v_mul_f32_dpp v56, v24, v22 row_newbcast:3 row_mask:0xf bank_mask:0xf// 000000004798: 0A702CFA FF015318
	v_mov_b32_e32 v57, v56                                     // 0000000047A0: 7E720338
	v_pk_fma_f32 v[84:85], v[116:117], v[56:57], v[84:85]      // 0000000047A4: D3B04054 1D527174
	v_pk_fma_f32 v[86:87], v[118:119], v[56:57], v[86:87]      // 0000000047AC: D3B04056 1D5A7176
	v_pk_fma_f32 v[92:93], v[124:125], v[56:57], v[92:93]      // 0000000047B4: D3B0405C 1D72717C
	v_pk_fma_f32 v[94:95], v[126:127], v[56:57], v[94:95]      // 0000000047BC: D3B0405E 1D7A717E
	s_add_u32 s60, 0x200, s80                                  // 0000000047C4: 803C50FF 00000200
	s_cmp_lt_u32 s60, s81                                      // 0000000047CC: BF0A513C
	s_cselect_b32 s57, s57, 0                                  // 0000000047D0: 85398039
	s_cselect_b32 s3, s3, 0                                    // 0000000047D4: 85038003
	s_add_u32 s60, 0x200, s80                                  // 0000000047D8: 803C50FF 00000200
	s_cmp_lt_u32 s60, s81                                      // 0000000047E0: BF0A513C
	s_cselect_b32 s58, s58, 0                                  // 0000000047E4: 853A803A
	s_add_u32 s20, s57, s20                                    // 0000000047E8: 80141439
	s_addc_u32 s21, 0, s21                                     // 0000000047EC: 82151580
	s_add_u32 s28, s3, s28                                     // 0000000047F0: 801C1C03
	s_addc_u32 s29, 0, s29                                     // 0000000047F4: 821D1D80
	s_add_u32 s24, s58, s24                                    // 0000000047F8: 8018183A
	s_addc_u32 s25, 0, s25                                     // 0000000047FC: 82191980
	s_add_u32 s92, s90, s92                                    // 000000004800: 805C5C5A
	s_addc_u32 s93, 0, s93                                     // 000000004804: 825D5D80
	s_addk_i32 s80, 0x100                                      // 000000004808: B7500100
	s_cmp_lt_i32 s80, s81                                      // 00000000480C: BF045150
	s_cbranch_scc0 label_0746                                  // 000000004810: BF840001
	s_branch label_02A5                                        // 000000004814: BF82FB5F

0000000000004818 <label_0746>:
	s_mov_b32 s36, -1                                          // 000000004818: BEA400C1
	s_mov_b32 s37, -1                                          // 00000000481C: BEA500C1
	s_mov_b64 s[60:61], 0                                      // 000000004820: BEBC0180
	s_cmp_lt_u32 s82, s66                                      // 000000004824: BF0A4252
	s_cselect_b64 s[20:21], s[36:37], s[60:61]                 // 000000004828: 85943C24
	s_cmp_lt_u32 s83, s66                                      // 00000000482C: BF0A4253
	s_cselect_b64 s[22:23], s[36:37], s[60:61]                 // 000000004830: 85963C24
	s_cmp_lt_u32 s84, s66                                      // 000000004834: BF0A4254
	s_cselect_b64 s[24:25], s[36:37], s[60:61]                 // 000000004838: 85983C24
	s_cmp_lt_u32 s85, s66                                      // 00000000483C: BF0A4255
	s_cselect_b64 s[26:27], s[36:37], s[60:61]                 // 000000004840: 859A3C24
	s_cmp_lt_u32 s86, s66                                      // 000000004844: BF0A4256
	s_cselect_b64 s[28:29], s[36:37], s[60:61]                 // 000000004848: 859C3C24
	s_cmp_lt_u32 s87, s66                                      // 00000000484C: BF0A4257
	s_cselect_b64 s[30:31], s[36:37], s[60:61]                 // 000000004850: 859E3C24
	s_cmp_lt_u32 s88, s66                                      // 000000004854: BF0A4258
	s_cselect_b64 s[32:33], s[36:37], s[60:61]                 // 000000004858: 85A03C24
	s_cmp_lt_u32 s89, s66                                      // 00000000485C: BF0A4259
	s_cselect_b64 s[34:35], s[36:37], s[60:61]                 // 000000004860: 85A23C24
	s_waitcnt vmcnt(12)                                        // 000000004864: BF8C0F7C
	buffer_load_dwordx4 a[0:3], v48, s[12:15], 0 offen         // 000000004868: E05C1000 80830030
	v_mul_f32_e64 v56, -v128, s6                               // 000000004870: D1050038 20000D80
	v_mul_f32_e64 v57, -v129, s6                               // 000000004878: D1050039 20000D81
	v_mul_f32_e64 v58, -v130, s6                               // 000000004880: D105003A 20000D82
	v_mul_f32_e64 v59, -v131, s6                               // 000000004888: D105003B 20000D83
	v_exp_f32_e32 v56, v56                                     // 000000004890: 7E704138
	v_exp_f32_e32 v57, v57                                     // 000000004894: 7E724139
	v_exp_f32_e32 v58, v58                                     // 000000004898: 7E74413A
	v_exp_f32_e32 v59, v59                                     // 00000000489C: 7E76413B
	buffer_load_dwordx4 a[4:7], v49, s[12:15], 0 offen         // 0000000048A0: E05C1000 80830431
	v_add_f32_e64 v56, v56, 1.0                                // 0000000048A8: D1010038 0001E538
	v_add_f32_e64 v57, v57, 1.0                                // 0000000048B0: D1010039 0001E539
	v_add_f32_e64 v58, v58, 1.0                                // 0000000048B8: D101003A 0001E53A
	v_add_f32_e64 v59, v59, 1.0                                // 0000000048C0: D101003B 0001E53B
	v_rcp_f32_e32 v56, v56                                     // 0000000048C8: 7E704538
	v_rcp_f32_e32 v57, v57                                     // 0000000048CC: 7E724539
	v_rcp_f32_e32 v58, v58                                     // 0000000048D0: 7E74453A
	v_rcp_f32_e32 v59, v59                                     // 0000000048D4: 7E76453B
	v_mul_f32_e32 v128, v128, v56                              // 0000000048D8: 0B007180
	v_mul_f32_e32 v129, v129, v57                              // 0000000048DC: 0B027381
	v_mul_f32_e32 v130, v130, v58                              // 0000000048E0: 0B047582
	v_mul_f32_e32 v131, v131, v59                              // 0000000048E4: 0B067783
	v_mul_f32_e32 v128, v128, v64                              // 0000000048E8: 0B008180
	v_mul_f32_e32 v129, v129, v65                              // 0000000048EC: 0B028381
	v_mul_f32_e32 v130, v130, v66                              // 0000000048F0: 0B048582
	v_mul_f32_e32 v131, v131, v67                              // 0000000048F4: 0B068783
	buffer_load_dwordx4 a[8:11], v50, s[12:15], 0 offen        // 0000000048F8: E05C1000 80830832
	v_mul_f32_e64 v56, -v132, s6                               // 000000004900: D1050038 20000D84
	v_mul_f32_e64 v57, -v133, s6                               // 000000004908: D1050039 20000D85
	v_mul_f32_e64 v58, -v134, s6                               // 000000004910: D105003A 20000D86
	v_mul_f32_e64 v59, -v135, s6                               // 000000004918: D105003B 20000D87
	v_exp_f32_e32 v56, v56                                     // 000000004920: 7E704138
	v_exp_f32_e32 v57, v57                                     // 000000004924: 7E724139
	v_exp_f32_e32 v58, v58                                     // 000000004928: 7E74413A
	v_exp_f32_e32 v59, v59                                     // 00000000492C: 7E76413B
	buffer_load_dwordx4 a[12:15], v51, s[12:15], 0 offen       // 000000004930: E05C1000 80830C33
	s_add_u32 s12, s78, s12                                    // 000000004938: 800C0C4E
	s_addc_u32 s13, 0, s13                                     // 00000000493C: 820D0D80
	v_add_f32_e64 v56, v56, 1.0                                // 000000004940: D1010038 0001E538
	v_add_f32_e64 v57, v57, 1.0                                // 000000004948: D1010039 0001E539
	v_add_f32_e64 v58, v58, 1.0                                // 000000004950: D101003A 0001E53A
	v_add_f32_e64 v59, v59, 1.0                                // 000000004958: D101003B 0001E53B
	v_rcp_f32_e32 v56, v56                                     // 000000004960: 7E704538
	v_rcp_f32_e32 v57, v57                                     // 000000004964: 7E724539
	v_rcp_f32_e32 v58, v58                                     // 000000004968: 7E74453A
	v_rcp_f32_e32 v59, v59                                     // 00000000496C: 7E76453B
	v_mul_f32_e32 v132, v132, v56                              // 000000004970: 0B087184
	v_mul_f32_e32 v133, v133, v57                              // 000000004974: 0B0A7385
	v_mul_f32_e32 v134, v134, v58                              // 000000004978: 0B0C7586
	v_mul_f32_e32 v135, v135, v59                              // 00000000497C: 0B0E7787
	v_mul_f32_e32 v132, v132, v68                              // 000000004980: 0B088984
	v_mul_f32_e32 v133, v133, v69                              // 000000004984: 0B0A8B85
	v_mul_f32_e32 v134, v134, v70                              // 000000004988: 0B0C8D86
	v_mul_f32_e32 v135, v135, v71                              // 00000000498C: 0B0E8F87
	s_waitcnt vmcnt(12)                                        // 000000004990: BF8C0F7C
	buffer_load_dwordx4 a[16:19], v48, s[12:15], 0 offen       // 000000004994: E05C1000 80831030
	v_mul_f32_e64 v56, -v136, s6                               // 00000000499C: D1050038 20000D88
	v_mul_f32_e64 v57, -v137, s6                               // 0000000049A4: D1050039 20000D89
	v_mul_f32_e64 v58, -v138, s6                               // 0000000049AC: D105003A 20000D8A
	v_mul_f32_e64 v59, -v139, s6                               // 0000000049B4: D105003B 20000D8B
	v_exp_f32_e32 v56, v56                                     // 0000000049BC: 7E704138
	v_exp_f32_e32 v57, v57                                     // 0000000049C0: 7E724139
	v_exp_f32_e32 v58, v58                                     // 0000000049C4: 7E74413A
	v_exp_f32_e32 v59, v59                                     // 0000000049C8: 7E76413B
	buffer_load_dwordx4 a[20:23], v49, s[12:15], 0 offen       // 0000000049CC: E05C1000 80831431
	v_add_f32_e64 v56, v56, 1.0                                // 0000000049D4: D1010038 0001E538
	v_add_f32_e64 v57, v57, 1.0                                // 0000000049DC: D1010039 0001E539
	v_add_f32_e64 v58, v58, 1.0                                // 0000000049E4: D101003A 0001E53A
	v_add_f32_e64 v59, v59, 1.0                                // 0000000049EC: D101003B 0001E53B
	v_rcp_f32_e32 v56, v56                                     // 0000000049F4: 7E704538
	v_rcp_f32_e32 v57, v57                                     // 0000000049F8: 7E724539
	v_rcp_f32_e32 v58, v58                                     // 0000000049FC: 7E74453A
	v_rcp_f32_e32 v59, v59                                     // 000000004A00: 7E76453B
	v_mul_f32_e32 v136, v136, v56                              // 000000004A04: 0B107188
	v_mul_f32_e32 v137, v137, v57                              // 000000004A08: 0B127389
	v_mul_f32_e32 v138, v138, v58                              // 000000004A0C: 0B14758A
	v_mul_f32_e32 v139, v139, v59                              // 000000004A10: 0B16778B
	v_mul_f32_e32 v136, v136, v72                              // 000000004A14: 0B109188
	v_mul_f32_e32 v137, v137, v73                              // 000000004A18: 0B129389
	v_mul_f32_e32 v138, v138, v74                              // 000000004A1C: 0B14958A
	v_mul_f32_e32 v139, v139, v75                              // 000000004A20: 0B16978B
	buffer_load_dwordx4 a[24:27], v50, s[12:15], 0 offen       // 000000004A24: E05C1000 80831832
	v_mul_f32_e64 v56, -v140, s6                               // 000000004A2C: D1050038 20000D8C
	v_mul_f32_e64 v57, -v141, s6                               // 000000004A34: D1050039 20000D8D
	v_mul_f32_e64 v58, -v142, s6                               // 000000004A3C: D105003A 20000D8E
	v_mul_f32_e64 v59, -v143, s6                               // 000000004A44: D105003B 20000D8F
	v_exp_f32_e32 v56, v56                                     // 000000004A4C: 7E704138
	v_exp_f32_e32 v57, v57                                     // 000000004A50: 7E724139
	v_exp_f32_e32 v58, v58                                     // 000000004A54: 7E74413A
	v_exp_f32_e32 v59, v59                                     // 000000004A58: 7E76413B
	buffer_load_dwordx4 a[28:31], v51, s[12:15], 0 offen       // 000000004A5C: E05C1000 80831C33
	s_add_u32 s12, s78, s12                                    // 000000004A64: 800C0C4E
	s_addc_u32 s13, 0, s13                                     // 000000004A68: 820D0D80
	v_add_f32_e64 v56, v56, 1.0                                // 000000004A6C: D1010038 0001E538
	v_add_f32_e64 v57, v57, 1.0                                // 000000004A74: D1010039 0001E539
	v_add_f32_e64 v58, v58, 1.0                                // 000000004A7C: D101003A 0001E53A
	v_add_f32_e64 v59, v59, 1.0                                // 000000004A84: D101003B 0001E53B
	v_rcp_f32_e32 v56, v56                                     // 000000004A8C: 7E704538
	v_rcp_f32_e32 v57, v57                                     // 000000004A90: 7E724539
	v_rcp_f32_e32 v58, v58                                     // 000000004A94: 7E74453A
	v_rcp_f32_e32 v59, v59                                     // 000000004A98: 7E76453B
	v_mul_f32_e32 v140, v140, v56                              // 000000004A9C: 0B18718C
	v_mul_f32_e32 v141, v141, v57                              // 000000004AA0: 0B1A738D
	v_mul_f32_e32 v142, v142, v58                              // 000000004AA4: 0B1C758E
	v_mul_f32_e32 v143, v143, v59                              // 000000004AA8: 0B1E778F
	v_mul_f32_e32 v140, v140, v76                              // 000000004AAC: 0B18998C
	v_mul_f32_e32 v141, v141, v77                              // 000000004AB0: 0B1A9B8D
	v_mul_f32_e32 v142, v142, v78                              // 000000004AB4: 0B1C9D8E
	v_mul_f32_e32 v143, v143, v79                              // 000000004AB8: 0B1E9F8F
	s_waitcnt vmcnt(12)                                        // 000000004ABC: BF8C0F7C
	buffer_load_dwordx4 a[32:35], v48, s[12:15], 0 offen       // 000000004AC0: E05C1000 80832030
	v_mul_f32_e64 v56, -v144, s6                               // 000000004AC8: D1050038 20000D90
	v_mul_f32_e64 v57, -v145, s6                               // 000000004AD0: D1050039 20000D91
	v_mul_f32_e64 v58, -v146, s6                               // 000000004AD8: D105003A 20000D92
	v_mul_f32_e64 v59, -v147, s6                               // 000000004AE0: D105003B 20000D93
	v_exp_f32_e32 v56, v56                                     // 000000004AE8: 7E704138
	v_exp_f32_e32 v57, v57                                     // 000000004AEC: 7E724139
	v_exp_f32_e32 v58, v58                                     // 000000004AF0: 7E74413A
	v_exp_f32_e32 v59, v59                                     // 000000004AF4: 7E76413B
	buffer_load_dwordx4 a[36:39], v49, s[12:15], 0 offen       // 000000004AF8: E05C1000 80832431
	v_add_f32_e64 v56, v56, 1.0                                // 000000004B00: D1010038 0001E538
	v_add_f32_e64 v57, v57, 1.0                                // 000000004B08: D1010039 0001E539
	v_add_f32_e64 v58, v58, 1.0                                // 000000004B10: D101003A 0001E53A
	v_add_f32_e64 v59, v59, 1.0                                // 000000004B18: D101003B 0001E53B
	v_rcp_f32_e32 v56, v56                                     // 000000004B20: 7E704538
	v_rcp_f32_e32 v57, v57                                     // 000000004B24: 7E724539
	v_rcp_f32_e32 v58, v58                                     // 000000004B28: 7E74453A
	v_rcp_f32_e32 v59, v59                                     // 000000004B2C: 7E76453B
	v_mul_f32_e32 v144, v144, v56                              // 000000004B30: 0B207190
	v_mul_f32_e32 v145, v145, v57                              // 000000004B34: 0B227391
	v_mul_f32_e32 v146, v146, v58                              // 000000004B38: 0B247592
	v_mul_f32_e32 v147, v147, v59                              // 000000004B3C: 0B267793
	v_mul_f32_e32 v144, v144, v80                              // 000000004B40: 0B20A190
	v_mul_f32_e32 v145, v145, v81                              // 000000004B44: 0B22A391
	v_mul_f32_e32 v146, v146, v82                              // 000000004B48: 0B24A592
	v_mul_f32_e32 v147, v147, v83                              // 000000004B4C: 0B26A793
	buffer_load_dwordx4 a[40:43], v50, s[12:15], 0 offen       // 000000004B50: E05C1000 80832832
	v_mul_f32_e64 v56, -v148, s6                               // 000000004B58: D1050038 20000D94
	v_mul_f32_e64 v57, -v149, s6                               // 000000004B60: D1050039 20000D95
	v_mul_f32_e64 v58, -v150, s6                               // 000000004B68: D105003A 20000D96
	v_mul_f32_e64 v59, -v151, s6                               // 000000004B70: D105003B 20000D97
	v_exp_f32_e32 v56, v56                                     // 000000004B78: 7E704138
	v_exp_f32_e32 v57, v57                                     // 000000004B7C: 7E724139
	v_exp_f32_e32 v58, v58                                     // 000000004B80: 7E74413A
	v_exp_f32_e32 v59, v59                                     // 000000004B84: 7E76413B
	buffer_load_dwordx4 a[44:47], v51, s[12:15], 0 offen       // 000000004B88: E05C1000 80832C33
	s_add_u32 s12, s78, s12                                    // 000000004B90: 800C0C4E
	s_addc_u32 s13, 0, s13                                     // 000000004B94: 820D0D80
	v_add_f32_e64 v56, v56, 1.0                                // 000000004B98: D1010038 0001E538
	v_add_f32_e64 v57, v57, 1.0                                // 000000004BA0: D1010039 0001E539
	v_add_f32_e64 v58, v58, 1.0                                // 000000004BA8: D101003A 0001E53A
	v_add_f32_e64 v59, v59, 1.0                                // 000000004BB0: D101003B 0001E53B
	v_rcp_f32_e32 v56, v56                                     // 000000004BB8: 7E704538
	v_rcp_f32_e32 v57, v57                                     // 000000004BBC: 7E724539
	v_rcp_f32_e32 v58, v58                                     // 000000004BC0: 7E74453A
	v_rcp_f32_e32 v59, v59                                     // 000000004BC4: 7E76453B
	v_mul_f32_e32 v148, v148, v56                              // 000000004BC8: 0B287194
	v_mul_f32_e32 v149, v149, v57                              // 000000004BCC: 0B2A7395
	v_mul_f32_e32 v150, v150, v58                              // 000000004BD0: 0B2C7596
	v_mul_f32_e32 v151, v151, v59                              // 000000004BD4: 0B2E7797
	v_mul_f32_e32 v148, v148, v84                              // 000000004BD8: 0B28A994
	v_mul_f32_e32 v149, v149, v85                              // 000000004BDC: 0B2AAB95
	v_mul_f32_e32 v150, v150, v86                              // 000000004BE0: 0B2CAD96
	v_mul_f32_e32 v151, v151, v87                              // 000000004BE4: 0B2EAF97
	s_waitcnt vmcnt(12)                                        // 000000004BE8: BF8C0F7C
	buffer_load_dwordx4 a[48:51], v48, s[12:15], 0 offen       // 000000004BEC: E05C1000 80833030
	v_mul_f32_e64 v56, -v152, s6                               // 000000004BF4: D1050038 20000D98
	v_mul_f32_e64 v57, -v153, s6                               // 000000004BFC: D1050039 20000D99
	v_mul_f32_e64 v58, -v154, s6                               // 000000004C04: D105003A 20000D9A
	v_mul_f32_e64 v59, -v155, s6                               // 000000004C0C: D105003B 20000D9B
	v_exp_f32_e32 v56, v56                                     // 000000004C14: 7E704138
	v_exp_f32_e32 v57, v57                                     // 000000004C18: 7E724139
	v_exp_f32_e32 v58, v58                                     // 000000004C1C: 7E74413A
	v_exp_f32_e32 v59, v59                                     // 000000004C20: 7E76413B
	buffer_load_dwordx4 a[52:55], v49, s[12:15], 0 offen       // 000000004C24: E05C1000 80833431
	v_add_f32_e64 v56, v56, 1.0                                // 000000004C2C: D1010038 0001E538
	v_add_f32_e64 v57, v57, 1.0                                // 000000004C34: D1010039 0001E539
	v_add_f32_e64 v58, v58, 1.0                                // 000000004C3C: D101003A 0001E53A
	v_add_f32_e64 v59, v59, 1.0                                // 000000004C44: D101003B 0001E53B
	v_rcp_f32_e32 v56, v56                                     // 000000004C4C: 7E704538
	v_rcp_f32_e32 v57, v57                                     // 000000004C50: 7E724539
	v_rcp_f32_e32 v58, v58                                     // 000000004C54: 7E74453A
	v_rcp_f32_e32 v59, v59                                     // 000000004C58: 7E76453B
	v_mul_f32_e32 v152, v152, v56                              // 000000004C5C: 0B307198
	v_mul_f32_e32 v153, v153, v57                              // 000000004C60: 0B327399
	v_mul_f32_e32 v154, v154, v58                              // 000000004C64: 0B34759A
	v_mul_f32_e32 v155, v155, v59                              // 000000004C68: 0B36779B
	v_mul_f32_e32 v152, v152, v88                              // 000000004C6C: 0B30B198
	v_mul_f32_e32 v153, v153, v89                              // 000000004C70: 0B32B399
	v_mul_f32_e32 v154, v154, v90                              // 000000004C74: 0B34B59A
	v_mul_f32_e32 v155, v155, v91                              // 000000004C78: 0B36B79B
	buffer_load_dwordx4 a[56:59], v50, s[12:15], 0 offen       // 000000004C7C: E05C1000 80833832
	v_mul_f32_e64 v56, -v156, s6                               // 000000004C84: D1050038 20000D9C
	v_mul_f32_e64 v57, -v157, s6                               // 000000004C8C: D1050039 20000D9D
	v_mul_f32_e64 v58, -v158, s6                               // 000000004C94: D105003A 20000D9E
	v_mul_f32_e64 v59, -v159, s6                               // 000000004C9C: D105003B 20000D9F
	v_exp_f32_e32 v56, v56                                     // 000000004CA4: 7E704138
	v_exp_f32_e32 v57, v57                                     // 000000004CA8: 7E724139
	v_exp_f32_e32 v58, v58                                     // 000000004CAC: 7E74413A
	v_exp_f32_e32 v59, v59                                     // 000000004CB0: 7E76413B
	buffer_load_dwordx4 a[60:63], v51, s[12:15], 0 offen       // 000000004CB4: E05C1000 80833C33
	v_add_f32_e64 v56, v56, 1.0                                // 000000004CBC: D1010038 0001E538
	v_add_f32_e64 v57, v57, 1.0                                // 000000004CC4: D1010039 0001E539
	v_add_f32_e64 v58, v58, 1.0                                // 000000004CCC: D101003A 0001E53A
	v_add_f32_e64 v59, v59, 1.0                                // 000000004CD4: D101003B 0001E53B
	v_rcp_f32_e32 v56, v56                                     // 000000004CDC: 7E704538
	v_rcp_f32_e32 v57, v57                                     // 000000004CE0: 7E724539
	v_rcp_f32_e32 v58, v58                                     // 000000004CE4: 7E74453A
	v_rcp_f32_e32 v59, v59                                     // 000000004CE8: 7E76453B
	v_mul_f32_e32 v156, v156, v56                              // 000000004CEC: 0B38719C
	v_mul_f32_e32 v157, v157, v57                              // 000000004CF0: 0B3A739D
	v_mul_f32_e32 v158, v158, v58                              // 000000004CF4: 0B3C759E
	v_mul_f32_e32 v159, v159, v59                              // 000000004CF8: 0B3E779F
	v_mul_f32_e32 v156, v156, v92                              // 000000004CFC: 0B38B99C
	v_mul_f32_e32 v157, v157, v93                              // 000000004D00: 0B3ABB9D
	v_mul_f32_e32 v158, v158, v94                              // 000000004D04: 0B3CBD9E
	v_mul_f32_e32 v159, v159, v95                              // 000000004D08: 0B3EBF9F
	v_lshlrev_b32_e32 v56, 2, v0                               // 000000004D0C: 24700082
	s_mul_i32 s60, s82, s71                                    // 000000004D10: 923C4752
	v_add_u32_e64 v80, v56, s60                                // 000000004D14: D1340050 00007938
	v_mov_b32_e32 v81, 0                                       // 000000004D1C: 7EA20280
	s_mul_i32 s60, s83, s71                                    // 000000004D20: 923C4753
	v_add_u32_e64 v82, v56, s60                                // 000000004D24: D1340052 00007938
	v_mov_b32_e32 v83, 0                                       // 000000004D2C: 7EA60280
	s_mul_i32 s60, s84, s71                                    // 000000004D30: 923C4754
	v_add_u32_e64 v84, v56, s60                                // 000000004D34: D1340054 00007938
	v_mov_b32_e32 v85, 0                                       // 000000004D3C: 7EAA0280
	s_mul_i32 s60, s85, s71                                    // 000000004D40: 923C4755
	v_add_u32_e64 v86, v56, s60                                // 000000004D44: D1340056 00007938
	v_mov_b32_e32 v87, 0                                       // 000000004D4C: 7EAE0280
	s_mul_i32 s60, s86, s71                                    // 000000004D50: 923C4756
	v_add_u32_e64 v88, v56, s60                                // 000000004D54: D1340058 00007938
	v_mov_b32_e32 v89, 0                                       // 000000004D5C: 7EB20280
	s_mul_i32 s60, s87, s71                                    // 000000004D60: 923C4757
	v_add_u32_e64 v90, v56, s60                                // 000000004D64: D134005A 00007938
	v_mov_b32_e32 v91, 0                                       // 000000004D6C: 7EB60280
	s_mul_i32 s60, s88, s71                                    // 000000004D70: 923C4758
	v_add_u32_e64 v92, v56, s60                                // 000000004D74: D134005C 00007938
	v_mov_b32_e32 v93, 0                                       // 000000004D7C: 7EBA0280
	s_mul_i32 s60, s89, s71                                    // 000000004D80: 923C4759
	v_add_u32_e64 v94, v56, s60                                // 000000004D84: D134005E 00007938
	v_mov_b32_e32 v95, 0                                       // 000000004D8C: 7EBE0280
	buffer_load_dword v23, v6, s[16:19], 0 offen               // 000000004D90: E0501000 80041706
	v_mov_b32_e32 v28, 0x358637bd                              // 000000004D98: 7E3802FF 358637BD
	v_mov_b32_e32 v29, 0x358637bd                              // 000000004DA0: 7E3A02FF 358637BD
	v_max3_f32 v28, |v128|, |v129|, v28                        // 000000004DA8: D1D3031C 04730380
	v_max3_f32 v28, |v130|, |v131|, v28                        // 000000004DB0: D1D3031C 04730782
	v_max3_f32 v29, |v132|, |v133|, v29                        // 000000004DB8: D1D3031D 04770B84
	v_max3_f32 v29, |v134|, |v135|, v29                        // 000000004DC0: D1D3031D 04770F86
	v_max3_f32 v28, |v136|, |v137|, v28                        // 000000004DC8: D1D3031C 04731388
	v_max3_f32 v28, |v138|, |v139|, v28                        // 000000004DD0: D1D3031C 0473178A
	v_max3_f32 v29, |v140|, |v141|, v29                        // 000000004DD8: D1D3031D 04771B8C
	v_max3_f32 v29, |v142|, |v143|, v29                        // 000000004DE0: D1D3031D 04771F8E
	v_lshlrev_b32_e32 v56, 3, v0                               // 000000004DE8: 24700083
	s_mul_i32 s60, 0x200, s7                                   // 000000004DEC: 923C07FF 00000200
	v_add_u32_e32 v56, s60, v56                                // 000000004DF4: 6870703C
	ds_write_b64 v56, v[28:29] offset:18688                    // 000000004DF8: D89A4900 00001C38
	s_waitcnt lgkmcnt(0)                                       // 000000004E00: BF8CC07F
	s_barrier                                                  // 000000004E04: BF8A0000
	v_and_b32_e32 v56, 15, v0                                  // 000000004E08: 2670008F
	v_lshlrev_b32_e32 v56, 3, v56                              // 000000004E0C: 24707083
	ds_read_b64 v[96:97], v56 offset:18688                     // 000000004E10: D8EC4900 60000038
	ds_read_b64 v[98:99], v56 offset:18816                     // 000000004E18: D8EC4980 62000038
	ds_read_b64 v[100:101], v56 offset:18944                   // 000000004E20: D8EC4A00 64000038
	ds_read_b64 v[102:103], v56 offset:19072                   // 000000004E28: D8EC4A80 66000038
	ds_read_b64 v[104:105], v56 offset:19200                   // 000000004E30: D8EC4B00 68000038
	ds_read_b64 v[106:107], v56 offset:19328                   // 000000004E38: D8EC4B80 6A000038
	ds_read_b64 v[108:109], v56 offset:19456                   // 000000004E40: D8EC4C00 6C000038
	ds_read_b64 v[110:111], v56 offset:19584                   // 000000004E48: D8EC4C80 6E000038
	ds_read_b64 v[112:113], v56 offset:19712                   // 000000004E50: D8EC4D00 70000038
	ds_read_b64 v[114:115], v56 offset:19840                   // 000000004E58: D8EC4D80 72000038
	ds_read_b64 v[116:117], v56 offset:19968                   // 000000004E60: D8EC4E00 74000038
	ds_read_b64 v[118:119], v56 offset:20096                   // 000000004E68: D8EC4E80 76000038
	ds_read_b64 v[120:121], v56 offset:20224                   // 000000004E70: D8EC4F00 78000038
	ds_read_b64 v[122:123], v56 offset:20352                   // 000000004E78: D8EC4F80 7A000038
	ds_read_b64 v[124:125], v56 offset:20480                   // 000000004E80: D8EC5000 7C000038
	ds_read_b64 v[126:127], v56 offset:20608                   // 000000004E88: D8EC5080 7E000038
	s_waitcnt lgkmcnt(0)                                       // 000000004E90: BF8CC07F
	v_max3_f32 v28, |v96|, |v98|, v28                          // 000000004E94: D1D3031C 0472C560
	v_max3_f32 v29, |v97|, |v99|, v29                          // 000000004E9C: D1D3031D 0476C761
	v_max3_f32 v28, |v100|, |v102|, v28                        // 000000004EA4: D1D3031C 0472CD64
	v_max3_f32 v29, |v101|, |v103|, v29                        // 000000004EAC: D1D3031D 0476CF65
	v_max3_f32 v28, |v104|, |v106|, v28                        // 000000004EB4: D1D3031C 0472D568
	v_max3_f32 v29, |v105|, |v107|, v29                        // 000000004EBC: D1D3031D 0476D769
	v_max3_f32 v28, |v108|, |v110|, v28                        // 000000004EC4: D1D3031C 0472DD6C
	v_max3_f32 v29, |v109|, |v111|, v29                        // 000000004ECC: D1D3031D 0476DF6D
	v_max3_f32 v28, |v112|, |v114|, v28                        // 000000004ED4: D1D3031C 0472E570
	v_max3_f32 v29, |v113|, |v115|, v29                        // 000000004EDC: D1D3031D 0476E771
	v_max3_f32 v28, |v116|, |v118|, v28                        // 000000004EE4: D1D3031C 0472ED74
	v_max3_f32 v29, |v117|, |v119|, v29                        // 000000004EEC: D1D3031D 0476EF75
	v_max3_f32 v28, |v120|, |v122|, v28                        // 000000004EF4: D1D3031C 0472F578
	v_max3_f32 v29, |v121|, |v123|, v29                        // 000000004EFC: D1D3031D 0476F779
	v_max3_f32 v28, |v124|, |v126|, v28                        // 000000004F04: D1D3031C 0472FD7C
	v_max3_f32 v29, |v125|, |v127|, v29                        // 000000004F0C: D1D3031D 0476FF7D
	v_rcp_f32_e32 v28, v28                                     // 000000004F14: 7E38451C
	v_rcp_f32_e32 v29, v29                                     // 000000004F18: 7E3A451D
	v_mov_b32_e32 v56, 0x43700000                              // 000000004F1C: 7E7002FF 43700000
	v_mul_f32_e32 v28, v56, v28                                // 000000004F24: 0A383938
	v_mul_f32_e32 v29, v56, v29                                // 000000004F28: 0A3A3B38
	v_mul_f32_e32 v128, v28, v128                              // 000000004F2C: 0B01011C
	v_mul_f32_e32 v129, v28, v129                              // 000000004F30: 0B03031C
	v_mul_f32_e32 v130, v28, v130                              // 000000004F34: 0B05051C
	v_mul_f32_e32 v131, v28, v131                              // 000000004F38: 0B07071C
	v_cvt_pk_fp8_f32 v128, v128, v129                          // 000000004F3C: D2A20080 00030380
	v_cvt_pk_fp8_f32 v128, v130, v131 op_sel:[0,0,1]           // 000000004F44: D2A24080 00030782
	v_mul_f32_e32 v132, v29, v132                              // 000000004F4C: 0B09091D
	v_mul_f32_e32 v133, v29, v133                              // 000000004F50: 0B0B0B1D
	v_mul_f32_e32 v134, v29, v134                              // 000000004F54: 0B0D0D1D
	v_mul_f32_e32 v135, v29, v135                              // 000000004F58: 0B0F0F1D
	v_cvt_pk_fp8_f32 v129, v132, v133                          // 000000004F5C: D2A20081 00030B84
	v_cvt_pk_fp8_f32 v129, v134, v135 op_sel:[0,0,1]           // 000000004F64: D2A24081 00030F86
	v_mul_f32_e32 v136, v28, v136                              // 000000004F6C: 0B11111C
	v_mul_f32_e32 v137, v28, v137                              // 000000004F70: 0B13131C
	v_mul_f32_e32 v138, v28, v138                              // 000000004F74: 0B15151C
	v_mul_f32_e32 v139, v28, v139                              // 000000004F78: 0B17171C
	v_cvt_pk_fp8_f32 v130, v136, v137                          // 000000004F7C: D2A20082 00031388
	v_cvt_pk_fp8_f32 v130, v138, v139 op_sel:[0,0,1]           // 000000004F84: D2A24082 0003178A
	v_mul_f32_e32 v140, v29, v140                              // 000000004F8C: 0B19191D
	v_mul_f32_e32 v141, v29, v141                              // 000000004F90: 0B1B1B1D
	v_mul_f32_e32 v142, v29, v142                              // 000000004F94: 0B1D1D1D
	v_mul_f32_e32 v143, v29, v143                              // 000000004F98: 0B1F1F1D
	v_cvt_pk_fp8_f32 v131, v140, v141                          // 000000004F9C: D2A20083 00031B8C
	v_cvt_pk_fp8_f32 v131, v142, v143 op_sel:[0,0,1]           // 000000004FA4: D2A24083 00031F8E
	v_rcp_f32_e32 v32, v28                                     // 000000004FAC: 7E40451C
	v_rcp_f32_e32 v33, v29                                     // 000000004FB0: 7E42451D
	v_mov_b32_e32 v30, 0x358637bd                              // 000000004FB4: 7E3C02FF 358637BD
	v_mov_b32_e32 v31, 0x358637bd                              // 000000004FBC: 7E3E02FF 358637BD
	v_max3_f32 v30, |v144|, |v145|, v30                        // 000000004FC4: D1D3031E 047B2390
	v_max3_f32 v30, |v146|, |v147|, v30                        // 000000004FCC: D1D3031E 047B2792
	v_max3_f32 v31, |v148|, |v149|, v31                        // 000000004FD4: D1D3031F 047F2B94
	v_max3_f32 v31, |v150|, |v151|, v31                        // 000000004FDC: D1D3031F 047F2F96
	v_max3_f32 v30, |v152|, |v153|, v30                        // 000000004FE4: D1D3031E 047B3398
	v_max3_f32 v30, |v154|, |v155|, v30                        // 000000004FEC: D1D3031E 047B379A
	v_max3_f32 v31, |v156|, |v157|, v31                        // 000000004FF4: D1D3031F 047F3B9C
	v_max3_f32 v31, |v158|, |v159|, v31                        // 000000004FFC: D1D3031F 047F3F9E
	v_lshlrev_b32_e32 v56, 3, v0                               // 000000005004: 24700083
	s_mul_i32 s60, 0x200, s7                                   // 000000005008: 923C07FF 00000200
	v_add_u32_e32 v56, s60, v56                                // 000000005010: 6870703C
	ds_write_b64 v56, v[30:31] offset:18688                    // 000000005014: D89A4900 00001E38
	s_waitcnt lgkmcnt(0)                                       // 00000000501C: BF8CC07F
	s_barrier                                                  // 000000005020: BF8A0000
	v_and_b32_e32 v56, 15, v0                                  // 000000005024: 2670008F
	v_lshlrev_b32_e32 v56, 3, v56                              // 000000005028: 24707083
	ds_read_b64 v[96:97], v56 offset:18688                     // 00000000502C: D8EC4900 60000038
	ds_read_b64 v[98:99], v56 offset:18816                     // 000000005034: D8EC4980 62000038
	ds_read_b64 v[100:101], v56 offset:18944                   // 00000000503C: D8EC4A00 64000038
	ds_read_b64 v[102:103], v56 offset:19072                   // 000000005044: D8EC4A80 66000038
	ds_read_b64 v[104:105], v56 offset:19200                   // 00000000504C: D8EC4B00 68000038
	ds_read_b64 v[106:107], v56 offset:19328                   // 000000005054: D8EC4B80 6A000038
	ds_read_b64 v[108:109], v56 offset:19456                   // 00000000505C: D8EC4C00 6C000038
	ds_read_b64 v[110:111], v56 offset:19584                   // 000000005064: D8EC4C80 6E000038
	ds_read_b64 v[112:113], v56 offset:19712                   // 00000000506C: D8EC4D00 70000038
	ds_read_b64 v[114:115], v56 offset:19840                   // 000000005074: D8EC4D80 72000038
	ds_read_b64 v[116:117], v56 offset:19968                   // 00000000507C: D8EC4E00 74000038
	ds_read_b64 v[118:119], v56 offset:20096                   // 000000005084: D8EC4E80 76000038
	ds_read_b64 v[120:121], v56 offset:20224                   // 00000000508C: D8EC4F00 78000038
	ds_read_b64 v[122:123], v56 offset:20352                   // 000000005094: D8EC4F80 7A000038
	ds_read_b64 v[124:125], v56 offset:20480                   // 00000000509C: D8EC5000 7C000038
	ds_read_b64 v[126:127], v56 offset:20608                   // 0000000050A4: D8EC5080 7E000038
	s_waitcnt lgkmcnt(0)                                       // 0000000050AC: BF8CC07F
	v_max3_f32 v30, |v96|, |v98|, v30                          // 0000000050B0: D1D3031E 047AC560
	v_max3_f32 v31, |v97|, |v99|, v31                          // 0000000050B8: D1D3031F 047EC761
	v_max3_f32 v30, |v100|, |v102|, v30                        // 0000000050C0: D1D3031E 047ACD64
	v_max3_f32 v31, |v101|, |v103|, v31                        // 0000000050C8: D1D3031F 047ECF65
	v_max3_f32 v30, |v104|, |v106|, v30                        // 0000000050D0: D1D3031E 047AD568
	v_max3_f32 v31, |v105|, |v107|, v31                        // 0000000050D8: D1D3031F 047ED769
	v_max3_f32 v30, |v108|, |v110|, v30                        // 0000000050E0: D1D3031E 047ADD6C
	v_max3_f32 v31, |v109|, |v111|, v31                        // 0000000050E8: D1D3031F 047EDF6D
	v_max3_f32 v30, |v112|, |v114|, v30                        // 0000000050F0: D1D3031E 047AE570
	v_max3_f32 v31, |v113|, |v115|, v31                        // 0000000050F8: D1D3031F 047EE771
	v_max3_f32 v30, |v116|, |v118|, v30                        // 000000005100: D1D3031E 047AED74
	v_max3_f32 v31, |v117|, |v119|, v31                        // 000000005108: D1D3031F 047EEF75
	v_max3_f32 v30, |v120|, |v122|, v30                        // 000000005110: D1D3031E 047AF578
	v_max3_f32 v31, |v121|, |v123|, v31                        // 000000005118: D1D3031F 047EF779
	v_max3_f32 v30, |v124|, |v126|, v30                        // 000000005120: D1D3031E 047AFD7C
	v_max3_f32 v31, |v125|, |v127|, v31                        // 000000005128: D1D3031F 047EFF7D
	v_rcp_f32_e32 v30, v30                                     // 000000005130: 7E3C451E
	v_rcp_f32_e32 v31, v31                                     // 000000005134: 7E3E451F
	v_mov_b32_e32 v56, 0x43700000                              // 000000005138: 7E7002FF 43700000
	v_mul_f32_e32 v30, v56, v30                                // 000000005140: 0A3C3D38
	v_mul_f32_e32 v31, v56, v31                                // 000000005144: 0A3E3F38
	v_mul_f32_e32 v144, v30, v144                              // 000000005148: 0B21211E
	v_mul_f32_e32 v145, v30, v145                              // 00000000514C: 0B23231E
	v_mul_f32_e32 v146, v30, v146                              // 000000005150: 0B25251E
	v_mul_f32_e32 v147, v30, v147                              // 000000005154: 0B27271E
	v_cvt_pk_fp8_f32 v132, v144, v145                          // 000000005158: D2A20084 00032390
	v_cvt_pk_fp8_f32 v132, v146, v147 op_sel:[0,0,1]           // 000000005160: D2A24084 00032792
	v_mul_f32_e32 v148, v31, v148                              // 000000005168: 0B29291F
	v_mul_f32_e32 v149, v31, v149                              // 00000000516C: 0B2B2B1F
	v_mul_f32_e32 v150, v31, v150                              // 000000005170: 0B2D2D1F
	v_mul_f32_e32 v151, v31, v151                              // 000000005174: 0B2F2F1F
	v_cvt_pk_fp8_f32 v133, v148, v149                          // 000000005178: D2A20085 00032B94
	v_cvt_pk_fp8_f32 v133, v150, v151 op_sel:[0,0,1]           // 000000005180: D2A24085 00032F96
	v_mul_f32_e32 v152, v30, v152                              // 000000005188: 0B31311E
	v_mul_f32_e32 v153, v30, v153                              // 00000000518C: 0B33331E
	v_mul_f32_e32 v154, v30, v154                              // 000000005190: 0B35351E
	v_mul_f32_e32 v155, v30, v155                              // 000000005194: 0B37371E
	v_cvt_pk_fp8_f32 v134, v152, v153                          // 000000005198: D2A20086 00033398
	v_cvt_pk_fp8_f32 v134, v154, v155 op_sel:[0,0,1]           // 0000000051A0: D2A24086 0003379A
	v_mul_f32_e32 v156, v31, v156                              // 0000000051A8: 0B39391F
	v_mul_f32_e32 v157, v31, v157                              // 0000000051AC: 0B3B3B1F
	v_mul_f32_e32 v158, v31, v158                              // 0000000051B0: 0B3D3D1F
	v_mul_f32_e32 v159, v31, v159                              // 0000000051B4: 0B3F3F1F
	v_cvt_pk_fp8_f32 v135, v156, v157                          // 0000000051B8: D2A20087 00033B9C
	v_cvt_pk_fp8_f32 v135, v158, v159 op_sel:[0,0,1]           // 0000000051C0: D2A24087 00033F9E
	v_rcp_f32_e32 v34, v30                                     // 0000000051C8: 7E44451E
	v_rcp_f32_e32 v35, v31                                     // 0000000051CC: 7E46451F
	v_lshrrev_b32_e32 v56, 5, v0                               // 0000000051D0: 20700085
	v_lshlrev_b32_e32 v57, 5, v56                              // 0000000051D4: 24727085
	v_and_b32_e32 v56, 31, v0                                  // 0000000051D8: 2670009F
	v_lshrrev_b32_e32 v58, 4, v56                              // 0000000051DC: 20747084
	v_add_u32_e32 v57, v58, v57                                // 0000000051E0: 6872733A
	v_and_b32_e32 v56, 15, v0                                  // 0000000051E4: 2670008F
	v_lshlrev_b32_e32 v56, 1, v56                              // 0000000051E8: 24707081
	v_add_u32_e32 v57, v56, v57                                // 0000000051EC: 68727338
	v_lshlrev_b32_e32 v56, 2, v57                              // 0000000051F0: 24707282
	s_mul_i32 s60, 0x100, s7                                   // 0000000051F4: 923C07FF 00000100
	v_add_u32_e64 v56, v56, s60                                // 0000000051FC: D1340038 00007938
	ds_write_b32 v56, v128 offset:20736                        // 000000005204: D81A5100 00008038
	ds_write_b32 v56, v129 offset:24832                        // 00000000520C: D81A6100 00008138
	ds_write_b32 v56, v130 offset:21760                        // 000000005214: D81A5500 00008238
	ds_write_b32 v56, v131 offset:25856                        // 00000000521C: D81A6500 00008338
	ds_write_b32 v56, v132 offset:22784                        // 000000005224: D81A5900 00008438
	ds_write_b32 v56, v133 offset:26880                        // 00000000522C: D81A6900 00008538
	ds_write_b32 v56, v134 offset:23808                        // 000000005234: D81A5D00 00008638
	ds_write_b32 v56, v135 offset:27904                        // 00000000523C: D81A6D00 00008738
	s_waitcnt lgkmcnt(0)                                       // 000000005244: BF8CC07F
	s_barrier                                                  // 000000005248: BF8A0000
	v_lshrrev_b32_e32 v56, 4, v0                               // 00000000524C: 20700084
	v_lshlrev_b32_e32 v57, 6, v56                              // 000000005250: 24727086
	v_and_b32_e32 v56, 15, v0                                  // 000000005254: 2670008F
	v_lshlrev_b32_e32 v56, 1, v56                              // 000000005258: 24707081
	v_add_u32_e32 v57, v56, v57                                // 00000000525C: 68727338
	v_lshlrev_b32_e32 v56, 2, v57                              // 000000005260: 24707282
	ds_read_b64 v[128:129], v56 offset:20736                   // 000000005264: D8EC5100 80000038
	ds_read_b64 v[130:131], v56 offset:20864                   // 00000000526C: D8EC5180 82000038
	ds_read_b64 v[132:133], v56 offset:21760                   // 000000005274: D8EC5500 84000038
	ds_read_b64 v[134:135], v56 offset:21888                   // 00000000527C: D8EC5580 86000038
	ds_read_b64 v[136:137], v56 offset:22784                   // 000000005284: D8EC5900 88000038
	ds_read_b64 v[138:139], v56 offset:22912                   // 00000000528C: D8EC5980 8A000038
	ds_read_b64 v[140:141], v56 offset:23808                   // 000000005294: D8EC5D00 8C000038
	ds_read_b64 v[142:143], v56 offset:23936                   // 00000000529C: D8EC5D80 8E000038
	ds_read_b64 v[144:145], v56 offset:24832                   // 0000000052A4: D8EC6100 90000038
	ds_read_b64 v[146:147], v56 offset:24960                   // 0000000052AC: D8EC6180 92000038
	ds_read_b64 v[148:149], v56 offset:25856                   // 0000000052B4: D8EC6500 94000038
	ds_read_b64 v[150:151], v56 offset:25984                   // 0000000052BC: D8EC6580 96000038
	ds_read_b64 v[152:153], v56 offset:26880                   // 0000000052C4: D8EC6900 98000038
	ds_read_b64 v[154:155], v56 offset:27008                   // 0000000052CC: D8EC6980 9A000038
	ds_read_b64 v[156:157], v56 offset:27904                   // 0000000052D4: D8EC6D00 9C000038
	ds_read_b64 v[158:159], v56 offset:28032                   // 0000000052DC: D8EC6D80 9E000038
	s_add_u32 s12, s56, s12                                    // 0000000052E4: 800C0C38
	s_addc_u32 s13, 0, s13                                     // 0000000052E8: 820D0D80
	s_add_u32 s16, s79, s16                                    // 0000000052EC: 8010104F
	s_addc_u32 s17, 0, s17                                     // 0000000052F0: 82111180
	s_waitcnt lgkmcnt(0)                                       // 0000000052F4: BF8CC07F
	s_barrier                                                  // 0000000052F8: BF8A0000
	v_mov_b32_e32 v192, 0                                      // 0000000052FC: 7F800280
	v_mov_b32_e32 v224, 0                                      // 000000005300: 7FC00280
	v_mov_b32_e32 v193, 0                                      // 000000005304: 7F820280
	v_mov_b32_e32 v225, 0                                      // 000000005308: 7FC20280
	v_mov_b32_e32 v194, 0                                      // 00000000530C: 7F840280
	v_mov_b32_e32 v226, 0                                      // 000000005310: 7FC40280
	v_mov_b32_e32 v195, 0                                      // 000000005314: 7F860280
	v_mov_b32_e32 v227, 0                                      // 000000005318: 7FC60280
	v_mov_b32_e32 v196, 0                                      // 00000000531C: 7F880280
	v_mov_b32_e32 v228, 0                                      // 000000005320: 7FC80280
	v_mov_b32_e32 v197, 0                                      // 000000005324: 7F8A0280
	v_mov_b32_e32 v229, 0                                      // 000000005328: 7FCA0280
	v_mov_b32_e32 v198, 0                                      // 00000000532C: 7F8C0280
	v_mov_b32_e32 v230, 0                                      // 000000005330: 7FCC0280
	v_mov_b32_e32 v199, 0                                      // 000000005334: 7F8E0280
	v_mov_b32_e32 v231, 0                                      // 000000005338: 7FCE0280
	v_mov_b32_e32 v200, 0                                      // 00000000533C: 7F900280
	v_mov_b32_e32 v232, 0                                      // 000000005340: 7FD00280
	v_mov_b32_e32 v201, 0                                      // 000000005344: 7F920280
	v_mov_b32_e32 v233, 0                                      // 000000005348: 7FD20280
	v_mov_b32_e32 v202, 0                                      // 00000000534C: 7F940280
	v_mov_b32_e32 v234, 0                                      // 000000005350: 7FD40280
	v_mov_b32_e32 v203, 0                                      // 000000005354: 7F960280
	v_mov_b32_e32 v235, 0                                      // 000000005358: 7FD60280
	v_mov_b32_e32 v204, 0                                      // 00000000535C: 7F980280
	v_mov_b32_e32 v236, 0                                      // 000000005360: 7FD80280
	v_mov_b32_e32 v205, 0                                      // 000000005364: 7F9A0280
	v_mov_b32_e32 v237, 0                                      // 000000005368: 7FDA0280
	v_mov_b32_e32 v206, 0                                      // 00000000536C: 7F9C0280
	v_mov_b32_e32 v238, 0                                      // 000000005370: 7FDC0280
	v_mov_b32_e32 v207, 0                                      // 000000005374: 7F9E0280
	v_mov_b32_e32 v239, 0                                      // 000000005378: 7FDE0280
	ds_write_b64 v4, v[192:193] offset:20736                   // 00000000537C: D89A5100 0000C004
	ds_write_b64 v4, v[194:195] offset:29440                   // 000000005384: D89A7300 0000C204
	ds_write_b64 v4, v[196:197] offset:22912                   // 00000000538C: D89A5980 0000C404
	ds_write_b64 v4, v[198:199] offset:31616                   // 000000005394: D89A7B80 0000C604
	ds_write_b64 v4, v[200:201] offset:25088                   // 00000000539C: D89A6200 0000C804
	ds_write_b64 v4, v[202:203] offset:33792                   // 0000000053A4: D89A8400 0000CA04
	ds_write_b64 v4, v[204:205] offset:27264                   // 0000000053AC: D89A6A80 0000CC04
	ds_write_b64 v4, v[206:207] offset:35968                   // 0000000053B4: D89A8C80 0000CE04
	s_mov_b32 s80, 0                                           // 0000000053BC: BED00080
	s_waitcnt vmcnt(0) expcnt(0) lgkmcnt(0)                    // 0000000053C0: BF8C0000

00000000000053c4 <label_0A31>:
	s_waitcnt vmcnt(28) lgkmcnt(0)                             // 0000000053C4: BF8C407C
	s_barrier                                                  // 0000000053C8: BF8A0000
	v_mfma_f32_16x16x32_fp8_fp8 v[192:195], a[0:1], v[128:129], 0// 0000000053CC: D3F300C0 0A030100
	ds_read_b32 v64, v5 offset:20736                           // 0000000053D4: D86C5100 40000005
	ds_read_b32 v65, v5 offset:25088                           // 0000000053DC: D86C6200 41000005
	v_mfma_f32_16x16x32_fp8_fp8 v[192:195], a[2:3], v[130:131], v[192:195]// 0000000053E4: D3F300C0 0F030502
	buffer_load_dwordx4 a[64:67], v48, s[12:15], 0 offen       // 0000000053EC: E05C1000 80834030
	v_mfma_f32_16x16x32_fp8_fp8 v[196:199], a[0:1], v[144:145], 0// 0000000053F4: D3F300C4 0A032100
	ds_read_b32 v66, v5 offset:20768                           // 0000000053FC: D86C5120 42000005
	ds_read_b32 v67, v5 offset:25120                           // 000000005404: D86C6220 43000005
	v_mfma_f32_16x16x32_fp8_fp8 v[196:199], a[2:3], v[146:147], v[196:199]// 00000000540C: D3F300C4 0F132502
	buffer_load_dword v24, v6, s[16:19], 0 offen               // 000000005414: E0501000 80041806
	v_mfma_f32_16x16x32_fp8_fp8 v[200:203], a[4:5], v[128:129], 0// 00000000541C: D3F300C8 0A030104
	ds_read_b32 v68, v5 offset:20800                           // 000000005424: D86C5140 44000005
	ds_read_b32 v69, v5 offset:25152                           // 00000000542C: D86C6240 45000005
	v_mfma_f32_16x16x32_fp8_fp8 v[200:203], a[6:7], v[130:131], v[200:203]// 000000005434: D3F300C8 0F230506
	buffer_load_dwordx4 a[68:71], v49, s[12:15], 0 offen       // 00000000543C: E05C1000 80834431
	v_mfma_f32_16x16x32_fp8_fp8 v[204:207], a[4:5], v[144:145], 0// 000000005444: D3F300CC 0A032104
	ds_read_b32 v70, v5 offset:20832                           // 00000000544C: D86C5160 46000005
	ds_read_b32 v71, v5 offset:25184                           // 000000005454: D86C6260 47000005
	v_mfma_f32_16x16x32_fp8_fp8 v[204:207], a[6:7], v[146:147], v[204:207]// 00000000545C: D3F300CC 0F332506
	v_mfma_f32_16x16x32_fp8_fp8 v[208:211], a[8:9], v[128:129], 0// 000000005464: D3F300D0 0A030108
	ds_read_b32 v72, v5 offset:29440                           // 00000000546C: D86C7300 48000005
	ds_read_b32 v73, v5 offset:33792                           // 000000005474: D86C8400 49000005
	v_mfma_f32_16x16x32_fp8_fp8 v[208:211], a[10:11], v[130:131], v[208:211]// 00000000547C: D3F300D0 0F43050A
	buffer_load_dwordx4 a[72:75], v50, s[12:15], 0 offen       // 000000005484: E05C1000 80834832
	v_mfma_f32_16x16x32_fp8_fp8 v[212:215], a[8:9], v[144:145], 0// 00000000548C: D3F300D4 0A032108
	ds_read_b32 v74, v5 offset:29472                           // 000000005494: D86C7320 4A000005
	ds_read_b32 v75, v5 offset:33824                           // 00000000549C: D86C8420 4B000005
	v_mfma_f32_16x16x32_fp8_fp8 v[212:215], a[10:11], v[146:147], v[212:215]// 0000000054A4: D3F300D4 0F53250A
	v_mfma_f32_16x16x32_fp8_fp8 v[216:219], a[12:13], v[128:129], 0// 0000000054AC: D3F300D8 0A03010C
	ds_read_b32 v76, v5 offset:29504                           // 0000000054B4: D86C7340 4C000005
	ds_read_b32 v77, v5 offset:33856                           // 0000000054BC: D86C8440 4D000005
	v_mfma_f32_16x16x32_fp8_fp8 v[216:219], a[14:15], v[130:131], v[216:219]// 0000000054C4: D3F300D8 0F63050E
	buffer_load_dwordx4 a[76:79], v51, s[12:15], 0 offen       // 0000000054CC: E05C1000 80834C33
	s_add_u32 s12, s78, s12                                    // 0000000054D4: 800C0C4E
	s_addc_u32 s13, 0, s13                                     // 0000000054D8: 820D0D80
	v_mfma_f32_16x16x32_fp8_fp8 v[220:223], a[12:13], v[144:145], 0// 0000000054DC: D3F300DC 0A03210C
	ds_read_b32 v78, v5 offset:29536                           // 0000000054E4: D86C7360 4E000005
	ds_read_b32 v79, v5 offset:33888                           // 0000000054EC: D86C8460 4F000005
	v_mfma_f32_16x16x32_fp8_fp8 v[220:223], a[14:15], v[146:147], v[220:223]// 0000000054F4: D3F300DC 0F73250E
	s_waitcnt vmcnt(29)                                        // 0000000054FC: BF8C4F7D
	v_mfma_f32_16x16x32_fp8_fp8 v[192:195], a[16:17], v[132:133], v[192:195]// 000000005500: D3F300C0 0F030910
	v_mfma_f32_16x16x32_fp8_fp8 v[192:195], a[18:19], v[134:135], v[192:195]// 000000005508: D3F300C0 0F030D12
	buffer_load_dwordx4 a[80:83], v48, s[12:15], 0 offen       // 000000005510: E05C1000 80835030
	v_mfma_f32_16x16x32_fp8_fp8 v[196:199], a[16:17], v[148:149], v[196:199]// 000000005518: D3F300C4 0F132910
	v_mfma_f32_16x16x32_fp8_fp8 v[196:199], a[18:19], v[150:151], v[196:199]// 000000005520: D3F300C4 0F132D12
	v_mfma_f32_16x16x32_fp8_fp8 v[200:203], a[20:21], v[132:133], v[200:203]// 000000005528: D3F300C8 0F230914
	v_mfma_f32_16x16x32_fp8_fp8 v[200:203], a[22:23], v[134:135], v[200:203]// 000000005530: D3F300C8 0F230D16
	buffer_load_dwordx4 a[84:87], v49, s[12:15], 0 offen       // 000000005538: E05C1000 80835431
	v_mfma_f32_16x16x32_fp8_fp8 v[204:207], a[20:21], v[148:149], v[204:207]// 000000005540: D3F300CC 0F332914
	v_mfma_f32_16x16x32_fp8_fp8 v[204:207], a[22:23], v[150:151], v[204:207]// 000000005548: D3F300CC 0F332D16
	v_mfma_f32_16x16x32_fp8_fp8 v[208:211], a[24:25], v[132:133], v[208:211]// 000000005550: D3F300D0 0F430918
	v_mfma_f32_16x16x32_fp8_fp8 v[208:211], a[26:27], v[134:135], v[208:211]// 000000005558: D3F300D0 0F430D1A
	buffer_load_dwordx4 a[88:91], v50, s[12:15], 0 offen       // 000000005560: E05C1000 80835832
	v_mfma_f32_16x16x32_fp8_fp8 v[212:215], a[24:25], v[148:149], v[212:215]// 000000005568: D3F300D4 0F532918
	v_mfma_f32_16x16x32_fp8_fp8 v[212:215], a[26:27], v[150:151], v[212:215]// 000000005570: D3F300D4 0F532D1A
	v_mfma_f32_16x16x32_fp8_fp8 v[216:219], a[28:29], v[132:133], v[216:219]// 000000005578: D3F300D8 0F63091C
	v_mfma_f32_16x16x32_fp8_fp8 v[216:219], a[30:31], v[134:135], v[216:219]// 000000005580: D3F300D8 0F630D1E
	buffer_load_dwordx4 a[92:95], v51, s[12:15], 0 offen       // 000000005588: E05C1000 80835C33
	s_add_u32 s12, s78, s12                                    // 000000005590: 800C0C4E
	s_addc_u32 s13, 0, s13                                     // 000000005594: 820D0D80
	v_mfma_f32_16x16x32_fp8_fp8 v[220:223], a[28:29], v[148:149], v[220:223]// 000000005598: D3F300DC 0F73291C
	v_mfma_f32_16x16x32_fp8_fp8 v[220:223], a[30:31], v[150:151], v[220:223]// 0000000055A0: D3F300DC 0F732D1E
	v_mul_f32_dpp v56, v23, v32 row_newbcast:0 row_mask:0xf bank_mask:0xf// 0000000055A8: 0A7040FA FF015017
	v_mov_b32_e32 v57, v56                                     // 0000000055B0: 7E720338
	v_pk_mul_f32 v[192:193], v[56:57], v[192:193]              // 0000000055B4: D3B140C0 18038138
	v_pk_mul_f32 v[194:195], v[56:57], v[194:195]              // 0000000055BC: D3B140C2 18038538
	v_pk_mul_f32 v[200:201], v[56:57], v[200:201]              // 0000000055C4: D3B140C8 18039138
	v_pk_mul_f32 v[202:203], v[56:57], v[202:203]              // 0000000055CC: D3B140CA 18039538
	v_mul_f32_dpp v56, v23, v32 row_newbcast:1 row_mask:0xf bank_mask:0xf// 0000000055D4: 0A7040FA FF015117
	v_mov_b32_e32 v57, v56                                     // 0000000055DC: 7E720338
	v_pk_mul_f32 v[208:209], v[56:57], v[208:209]              // 0000000055E0: D3B140D0 1803A138
	v_pk_mul_f32 v[210:211], v[56:57], v[210:211]              // 0000000055E8: D3B140D2 1803A538
	v_pk_mul_f32 v[216:217], v[56:57], v[216:217]              // 0000000055F0: D3B140D8 1803B138
	v_pk_mul_f32 v[218:219], v[56:57], v[218:219]              // 0000000055F8: D3B140DA 1803B538
	v_mul_f32_dpp v56, v23, v33 row_newbcast:0 row_mask:0xf bank_mask:0xf// 000000005600: 0A7042FA FF015017
	v_mov_b32_e32 v57, v56                                     // 000000005608: 7E720338
	v_pk_mul_f32 v[196:197], v[56:57], v[196:197]              // 00000000560C: D3B140C4 18038938
	v_pk_mul_f32 v[198:199], v[56:57], v[198:199]              // 000000005614: D3B140C6 18038D38
	v_pk_mul_f32 v[204:205], v[56:57], v[204:205]              // 00000000561C: D3B140CC 18039938
	v_pk_mul_f32 v[206:207], v[56:57], v[206:207]              // 000000005624: D3B140CE 18039D38
	v_mul_f32_dpp v56, v23, v33 row_newbcast:1 row_mask:0xf bank_mask:0xf// 00000000562C: 0A7042FA FF015117
	v_mov_b32_e32 v57, v56                                     // 000000005634: 7E720338
	v_pk_mul_f32 v[212:213], v[56:57], v[212:213]              // 000000005638: D3B140D4 1803A938
	v_pk_mul_f32 v[214:215], v[56:57], v[214:215]              // 000000005640: D3B140D6 1803AD38
	v_pk_mul_f32 v[220:221], v[56:57], v[220:221]              // 000000005648: D3B140DC 1803B938
	v_pk_mul_f32 v[222:223], v[56:57], v[222:223]              // 000000005650: D3B140DE 1803BD38
	s_waitcnt vmcnt(29)                                        // 000000005658: BF8C4F7D
	v_mfma_f32_16x16x32_fp8_fp8 v[160:163], a[32:33], v[136:137], 0// 00000000565C: D3F300A0 0A031120
	ds_write_b64 v4, v[224:225] offset:38144                   // 000000005664: D89A9500 0000E004
	v_mfma_f32_16x16x32_fp8_fp8 v[160:163], a[34:35], v[138:139], v[160:163]// 00000000566C: D3F300A0 0E831522
	buffer_load_dwordx4 a[96:99], v48, s[12:15], 0 offen       // 000000005674: E05C1000 80836030
	v_mfma_f32_16x16x32_fp8_fp8 v[164:167], a[32:33], v[152:153], 0// 00000000567C: D3F300A4 0A033120
	ds_write_b64 v4, v[226:227] offset:46848                   // 000000005684: D89AB700 0000E204
	v_mfma_f32_16x16x32_fp8_fp8 v[164:167], a[34:35], v[154:155], v[164:167]// 00000000568C: D3F300A4 0E933522
	v_mfma_f32_16x16x32_fp8_fp8 v[168:171], a[36:37], v[136:137], 0// 000000005694: D3F300A8 0A031124
	ds_write_b64 v4, v[228:229] offset:40320                   // 00000000569C: D89A9D80 0000E404
	v_mfma_f32_16x16x32_fp8_fp8 v[168:171], a[38:39], v[138:139], v[168:171]// 0000000056A4: D3F300A8 0EA31526
	buffer_load_dwordx4 a[100:103], v49, s[12:15], 0 offen     // 0000000056AC: E05C1000 80836431
	v_mfma_f32_16x16x32_fp8_fp8 v[172:175], a[36:37], v[152:153], 0// 0000000056B4: D3F300AC 0A033124
	ds_write_b64 v4, v[230:231] offset:49024                   // 0000000056BC: D89ABF80 0000E604
	v_mfma_f32_16x16x32_fp8_fp8 v[172:175], a[38:39], v[154:155], v[172:175]// 0000000056C4: D3F300AC 0EB33526
	v_mfma_f32_16x16x32_fp8_fp8 v[176:179], a[40:41], v[136:137], 0// 0000000056CC: D3F300B0 0A031128
	ds_write_b64 v4, v[232:233] offset:42496                   // 0000000056D4: D89AA600 0000E804
	v_mfma_f32_16x16x32_fp8_fp8 v[176:179], a[42:43], v[138:139], v[176:179]// 0000000056DC: D3F300B0 0EC3152A
	buffer_load_dwordx4 a[104:107], v50, s[12:15], 0 offen     // 0000000056E4: E05C1000 80836832
	v_mfma_f32_16x16x32_fp8_fp8 v[180:183], a[40:41], v[152:153], 0// 0000000056EC: D3F300B4 0A033128
	ds_write_b64 v4, v[234:235] offset:51200                   // 0000000056F4: D89AC800 0000EA04
	v_mfma_f32_16x16x32_fp8_fp8 v[180:183], a[42:43], v[154:155], v[180:183]// 0000000056FC: D3F300B4 0ED3352A
	v_mfma_f32_16x16x32_fp8_fp8 v[184:187], a[44:45], v[136:137], 0// 000000005704: D3F300B8 0A03112C
	ds_write_b64 v4, v[236:237] offset:44672                   // 00000000570C: D89AAE80 0000EC04
	v_mfma_f32_16x16x32_fp8_fp8 v[184:187], a[46:47], v[138:139], v[184:187]// 000000005714: D3F300B8 0EE3152E
	buffer_load_dwordx4 a[108:111], v51, s[12:15], 0 offen     // 00000000571C: E05C1000 80836C33
	s_add_u32 s12, s78, s12                                    // 000000005724: 800C0C4E
	s_addc_u32 s13, 0, s13                                     // 000000005728: 820D0D80
	v_mfma_f32_16x16x32_fp8_fp8 v[188:191], a[44:45], v[152:153], 0// 00000000572C: D3F300BC 0A03312C
	ds_write_b64 v4, v[238:239] offset:53376                   // 000000005734: D89AD080 0000EE04
	v_mfma_f32_16x16x32_fp8_fp8 v[188:191], a[46:47], v[154:155], v[188:191]// 00000000573C: D3F300BC 0EF3352E
	s_waitcnt vmcnt(29)                                        // 000000005744: BF8C4F7D
	v_mfma_f32_16x16x32_fp8_fp8 v[160:163], a[48:49], v[140:141], v[160:163]// 000000005748: D3F300A0 0E831930
	v_mfma_f32_16x16x32_fp8_fp8 v[160:163], a[50:51], v[142:143], v[160:163]// 000000005750: D3F300A0 0E831D32
	buffer_load_dwordx4 a[112:115], v48, s[12:15], 0 offen     // 000000005758: E05C1000 80837030
	v_mfma_f32_16x16x32_fp8_fp8 v[164:167], a[48:49], v[156:157], v[164:167]// 000000005760: D3F300A4 0E933930
	v_mfma_f32_16x16x32_fp8_fp8 v[164:167], a[50:51], v[158:159], v[164:167]// 000000005768: D3F300A4 0E933D32
	v_mfma_f32_16x16x32_fp8_fp8 v[168:171], a[52:53], v[140:141], v[168:171]// 000000005770: D3F300A8 0EA31934
	v_mfma_f32_16x16x32_fp8_fp8 v[168:171], a[54:55], v[142:143], v[168:171]// 000000005778: D3F300A8 0EA31D36
	buffer_load_dwordx4 a[116:119], v49, s[12:15], 0 offen     // 000000005780: E05C1000 80837431
	v_mfma_f32_16x16x32_fp8_fp8 v[172:175], a[52:53], v[156:157], v[172:175]// 000000005788: D3F300AC 0EB33934
	v_mfma_f32_16x16x32_fp8_fp8 v[172:175], a[54:55], v[158:159], v[172:175]// 000000005790: D3F300AC 0EB33D36
	v_mfma_f32_16x16x32_fp8_fp8 v[176:179], a[56:57], v[140:141], v[176:179]// 000000005798: D3F300B0 0EC31938
	v_mfma_f32_16x16x32_fp8_fp8 v[176:179], a[58:59], v[142:143], v[176:179]// 0000000057A0: D3F300B0 0EC31D3A
	buffer_load_dwordx4 a[120:123], v50, s[12:15], 0 offen     // 0000000057A8: E05C1000 80837832
	v_mfma_f32_16x16x32_fp8_fp8 v[180:183], a[56:57], v[156:157], v[180:183]// 0000000057B0: D3F300B4 0ED33938
	v_mfma_f32_16x16x32_fp8_fp8 v[180:183], a[58:59], v[158:159], v[180:183]// 0000000057B8: D3F300B4 0ED33D3A
	v_mfma_f32_16x16x32_fp8_fp8 v[184:187], a[60:61], v[140:141], v[184:187]// 0000000057C0: D3F300B8 0EE3193C
	v_mfma_f32_16x16x32_fp8_fp8 v[184:187], a[62:63], v[142:143], v[184:187]// 0000000057C8: D3F300B8 0EE31D3E
	buffer_load_dwordx4 a[124:127], v51, s[12:15], 0 offen     // 0000000057D0: E05C1000 80837C33
	v_mfma_f32_16x16x32_fp8_fp8 v[188:191], a[60:61], v[156:157], v[188:191]// 0000000057D8: D3F300BC 0EF3393C
	v_mfma_f32_16x16x32_fp8_fp8 v[188:191], a[62:63], v[158:159], v[188:191]// 0000000057E0: D3F300BC 0EF33D3E
	v_mul_f32_dpp v56, v23, v34 row_newbcast:2 row_mask:0xf bank_mask:0xf// 0000000057E8: 0A7044FA FF015217
	v_mov_b32_e32 v57, v56                                     // 0000000057F0: 7E720338
	v_pk_fma_f32 v[192:193], v[160:161], v[56:57], v[192:193]  // 0000000057F4: D3B040C0 1F0271A0
	v_pk_fma_f32 v[194:195], v[162:163], v[56:57], v[194:195]  // 0000000057FC: D3B040C2 1F0A71A2
	v_pk_fma_f32 v[200:201], v[168:169], v[56:57], v[200:201]  // 000000005804: D3B040C8 1F2271A8
	v_pk_fma_f32 v[202:203], v[170:171], v[56:57], v[202:203]  // 00000000580C: D3B040CA 1F2A71AA
	v_mul_f32_dpp v56, v23, v34 row_newbcast:3 row_mask:0xf bank_mask:0xf// 000000005814: 0A7044FA FF015317
	v_mov_b32_e32 v57, v56                                     // 00000000581C: 7E720338
	v_pk_fma_f32 v[208:209], v[176:177], v[56:57], v[208:209]  // 000000005820: D3B040D0 1F4271B0
	v_pk_fma_f32 v[210:211], v[178:179], v[56:57], v[210:211]  // 000000005828: D3B040D2 1F4A71B2
	v_pk_fma_f32 v[216:217], v[184:185], v[56:57], v[216:217]  // 000000005830: D3B040D8 1F6271B8
	v_pk_fma_f32 v[218:219], v[186:187], v[56:57], v[218:219]  // 000000005838: D3B040DA 1F6A71BA
	v_mul_f32_dpp v56, v23, v35 row_newbcast:2 row_mask:0xf bank_mask:0xf// 000000005840: 0A7046FA FF015217
	v_mov_b32_e32 v57, v56                                     // 000000005848: 7E720338
	v_pk_fma_f32 v[196:197], v[164:165], v[56:57], v[196:197]  // 00000000584C: D3B040C4 1F1271A4
	v_pk_fma_f32 v[198:199], v[166:167], v[56:57], v[198:199]  // 000000005854: D3B040C6 1F1A71A6
	v_pk_fma_f32 v[204:205], v[172:173], v[56:57], v[204:205]  // 00000000585C: D3B040CC 1F3271AC
	v_pk_fma_f32 v[206:207], v[174:175], v[56:57], v[206:207]  // 000000005864: D3B040CE 1F3A71AE
	v_mul_f32_dpp v56, v23, v35 row_newbcast:3 row_mask:0xf bank_mask:0xf// 00000000586C: 0A7046FA FF015317
	v_mov_b32_e32 v57, v56                                     // 000000005874: 7E720338
	v_pk_fma_f32 v[212:213], v[180:181], v[56:57], v[212:213]  // 000000005878: D3B040D4 1F5271B4
	v_pk_fma_f32 v[214:215], v[182:183], v[56:57], v[214:215]  // 000000005880: D3B040D6 1F5A71B6
	v_pk_fma_f32 v[220:221], v[188:189], v[56:57], v[220:221]  // 000000005888: D3B040DC 1F7271BC
	v_pk_fma_f32 v[222:223], v[190:191], v[56:57], v[222:223]  // 000000005890: D3B040DE 1F7A71BE
	s_add_u32 s60, 0x200, s80                                  // 000000005898: 803C50FF 00000200
	s_cmp_lt_u32 s60, s81                                      // 0000000058A0: BF0A513C
	s_cselect_b32 s56, s56, 0                                  // 0000000058A4: 85388038
	s_cselect_b32 s78, s78, 0                                  // 0000000058A8: 854E804E
	s_cselect_b32 s79, s79, 0                                  // 0000000058AC: 854F804F
	s_add_u32 s12, s56, s12                                    // 0000000058B0: 800C0C38
	s_addc_u32 s13, 0, s13                                     // 0000000058B4: 820D0D80
	s_add_u32 s16, s79, s16                                    // 0000000058B8: 8010104F
	s_addc_u32 s17, 0, s17                                     // 0000000058BC: 82111180
	v_mov_b32_e32 v56, v25                                     // 0000000058C0: 7E700319
	v_mov_b32_e32 v57, v25                                     // 0000000058C4: 7E720319
	v_pk_mul_f32 v[192:193], v[56:57], v[192:193]              // 0000000058C8: D3B140C0 18038138
	v_pk_mul_f32 v[194:195], v[56:57], v[194:195]              // 0000000058D0: D3B140C2 18038538
	v_pk_mul_f32 v[200:201], v[56:57], v[200:201]              // 0000000058D8: D3B140C8 18039138
	v_pk_mul_f32 v[202:203], v[56:57], v[202:203]              // 0000000058E0: D3B140CA 18039538
	v_pk_mul_f32 v[208:209], v[56:57], v[208:209]              // 0000000058E8: D3B140D0 1803A138
	v_pk_mul_f32 v[210:211], v[56:57], v[210:211]              // 0000000058F0: D3B140D2 1803A538
	v_pk_mul_f32 v[216:217], v[56:57], v[216:217]              // 0000000058F8: D3B140D8 1803B138
	v_pk_mul_f32 v[218:219], v[56:57], v[218:219]              // 000000005900: D3B140DA 1803B538
	v_mov_b32_e32 v56, v26                                     // 000000005908: 7E70031A
	v_mov_b32_e32 v57, v26                                     // 00000000590C: 7E72031A
	v_pk_mul_f32 v[196:197], v[56:57], v[196:197]              // 000000005910: D3B140C4 18038938
	v_pk_mul_f32 v[198:199], v[56:57], v[198:199]              // 000000005918: D3B140C6 18038D38
	v_pk_mul_f32 v[204:205], v[56:57], v[204:205]              // 000000005920: D3B140CC 18039938
	v_pk_mul_f32 v[206:207], v[56:57], v[206:207]              // 000000005928: D3B140CE 18039D38
	v_pk_mul_f32 v[212:213], v[56:57], v[212:213]              // 000000005930: D3B140D4 1803A938
	v_pk_mul_f32 v[214:215], v[56:57], v[214:215]              // 000000005938: D3B140D6 1803AD38
	v_pk_mul_f32 v[220:221], v[56:57], v[220:221]              // 000000005940: D3B140DC 1803B938
	v_pk_mul_f32 v[222:223], v[56:57], v[222:223]              // 000000005948: D3B140DE 1803BD38
	v_cmp_u_f32_e64 s[48:49], v192, v192                       // 000000005950: D0480030 000381C0
	v_add3_u32 v52, v192, v55, 1                               // 000000005958: D1FF0034 02066FC0
	v_cndmask_b32_e64 v56, v52, v54, s[48:49]                  // 000000005960: D1000038 00C26D34
	v_cmp_u_f32_e64 s[48:49], v193, v193                       // 000000005968: D0480030 000383C1
	v_add3_u32 v52, v193, v55, 1                               // 000000005970: D1FF0034 02066FC1
	v_cndmask_b32_e64 v57, v52, v54, s[48:49]                  // 000000005978: D1000039 00C26D34
	v_perm_b32 v192, v57, v56, s52                             // 000000005980: D1ED00C0 00D27139
	v_cmp_u_f32_e64 s[48:49], v194, v194                       // 000000005988: D0480030 000385C2
	v_add3_u32 v52, v194, v55, 1                               // 000000005990: D1FF0034 02066FC2
	v_cndmask_b32_e64 v56, v52, v54, s[48:49]                  // 000000005998: D1000038 00C26D34
	v_cmp_u_f32_e64 s[48:49], v195, v195                       // 0000000059A0: D0480030 000387C3
	v_add3_u32 v52, v195, v55, 1                               // 0000000059A8: D1FF0034 02066FC3
	v_cndmask_b32_e64 v57, v52, v54, s[48:49]                  // 0000000059B0: D1000039 00C26D34
	v_perm_b32 v193, v57, v56, s52                             // 0000000059B8: D1ED00C1 00D27139
	v_cmp_u_f32_e64 s[48:49], v196, v196                       // 0000000059C0: D0480030 000389C4
	v_add3_u32 v52, v196, v55, 1                               // 0000000059C8: D1FF0034 02066FC4
	v_cndmask_b32_e64 v56, v52, v54, s[48:49]                  // 0000000059D0: D1000038 00C26D34
	v_cmp_u_f32_e64 s[48:49], v197, v197                       // 0000000059D8: D0480030 00038BC5
	v_add3_u32 v52, v197, v55, 1                               // 0000000059E0: D1FF0034 02066FC5
	v_cndmask_b32_e64 v57, v52, v54, s[48:49]                  // 0000000059E8: D1000039 00C26D34
	v_perm_b32 v194, v57, v56, s52                             // 0000000059F0: D1ED00C2 00D27139
	v_cmp_u_f32_e64 s[48:49], v198, v198                       // 0000000059F8: D0480030 00038DC6
	v_add3_u32 v52, v198, v55, 1                               // 000000005A00: D1FF0034 02066FC6
	v_cndmask_b32_e64 v56, v52, v54, s[48:49]                  // 000000005A08: D1000038 00C26D34
	v_cmp_u_f32_e64 s[48:49], v199, v199                       // 000000005A10: D0480030 00038FC7
	v_add3_u32 v52, v199, v55, 1                               // 000000005A18: D1FF0034 02066FC7
	v_cndmask_b32_e64 v57, v52, v54, s[48:49]                  // 000000005A20: D1000039 00C26D34
	v_perm_b32 v195, v57, v56, s52                             // 000000005A28: D1ED00C3 00D27139
	v_cmp_u_f32_e64 s[48:49], v200, v200                       // 000000005A30: D0480030 000391C8
	v_add3_u32 v52, v200, v55, 1                               // 000000005A38: D1FF0034 02066FC8
	v_cndmask_b32_e64 v56, v52, v54, s[48:49]                  // 000000005A40: D1000038 00C26D34
	v_cmp_u_f32_e64 s[48:49], v201, v201                       // 000000005A48: D0480030 000393C9
	v_add3_u32 v52, v201, v55, 1                               // 000000005A50: D1FF0034 02066FC9
	v_cndmask_b32_e64 v57, v52, v54, s[48:49]                  // 000000005A58: D1000039 00C26D34
	v_perm_b32 v196, v57, v56, s52                             // 000000005A60: D1ED00C4 00D27139
	v_cmp_u_f32_e64 s[48:49], v202, v202                       // 000000005A68: D0480030 000395CA
	v_add3_u32 v52, v202, v55, 1                               // 000000005A70: D1FF0034 02066FCA
	v_cndmask_b32_e64 v56, v52, v54, s[48:49]                  // 000000005A78: D1000038 00C26D34
	v_cmp_u_f32_e64 s[48:49], v203, v203                       // 000000005A80: D0480030 000397CB
	v_add3_u32 v52, v203, v55, 1                               // 000000005A88: D1FF0034 02066FCB
	v_cndmask_b32_e64 v57, v52, v54, s[48:49]                  // 000000005A90: D1000039 00C26D34
	v_perm_b32 v197, v57, v56, s52                             // 000000005A98: D1ED00C5 00D27139
	v_cmp_u_f32_e64 s[48:49], v204, v204                       // 000000005AA0: D0480030 000399CC
	v_add3_u32 v52, v204, v55, 1                               // 000000005AA8: D1FF0034 02066FCC
	v_cndmask_b32_e64 v56, v52, v54, s[48:49]                  // 000000005AB0: D1000038 00C26D34
	v_cmp_u_f32_e64 s[48:49], v205, v205                       // 000000005AB8: D0480030 00039BCD
	v_add3_u32 v52, v205, v55, 1                               // 000000005AC0: D1FF0034 02066FCD
	v_cndmask_b32_e64 v57, v52, v54, s[48:49]                  // 000000005AC8: D1000039 00C26D34
	v_perm_b32 v198, v57, v56, s52                             // 000000005AD0: D1ED00C6 00D27139
	v_cmp_u_f32_e64 s[48:49], v206, v206                       // 000000005AD8: D0480030 00039DCE
	v_add3_u32 v52, v206, v55, 1                               // 000000005AE0: D1FF0034 02066FCE
	v_cndmask_b32_e64 v56, v52, v54, s[48:49]                  // 000000005AE8: D1000038 00C26D34
	v_cmp_u_f32_e64 s[48:49], v207, v207                       // 000000005AF0: D0480030 00039FCF
	v_add3_u32 v52, v207, v55, 1                               // 000000005AF8: D1FF0034 02066FCF
	v_cndmask_b32_e64 v57, v52, v54, s[48:49]                  // 000000005B00: D1000039 00C26D34
	v_perm_b32 v199, v57, v56, s52                             // 000000005B08: D1ED00C7 00D27139
	v_cmp_u_f32_e64 s[48:49], v208, v208                       // 000000005B10: D0480030 0003A1D0
	v_add3_u32 v52, v208, v55, 1                               // 000000005B18: D1FF0034 02066FD0
	v_cndmask_b32_e64 v56, v52, v54, s[48:49]                  // 000000005B20: D1000038 00C26D34
	v_cmp_u_f32_e64 s[48:49], v209, v209                       // 000000005B28: D0480030 0003A3D1
	v_add3_u32 v52, v209, v55, 1                               // 000000005B30: D1FF0034 02066FD1
	v_cndmask_b32_e64 v57, v52, v54, s[48:49]                  // 000000005B38: D1000039 00C26D34
	v_perm_b32 v200, v57, v56, s52                             // 000000005B40: D1ED00C8 00D27139
	v_cmp_u_f32_e64 s[48:49], v210, v210                       // 000000005B48: D0480030 0003A5D2
	v_add3_u32 v52, v210, v55, 1                               // 000000005B50: D1FF0034 02066FD2
	v_cndmask_b32_e64 v56, v52, v54, s[48:49]                  // 000000005B58: D1000038 00C26D34
	v_cmp_u_f32_e64 s[48:49], v211, v211                       // 000000005B60: D0480030 0003A7D3
	v_add3_u32 v52, v211, v55, 1                               // 000000005B68: D1FF0034 02066FD3
	v_cndmask_b32_e64 v57, v52, v54, s[48:49]                  // 000000005B70: D1000039 00C26D34
	v_perm_b32 v201, v57, v56, s52                             // 000000005B78: D1ED00C9 00D27139
	v_cmp_u_f32_e64 s[48:49], v212, v212                       // 000000005B80: D0480030 0003A9D4
	v_add3_u32 v52, v212, v55, 1                               // 000000005B88: D1FF0034 02066FD4
	v_cndmask_b32_e64 v56, v52, v54, s[48:49]                  // 000000005B90: D1000038 00C26D34
	v_cmp_u_f32_e64 s[48:49], v213, v213                       // 000000005B98: D0480030 0003ABD5
	v_add3_u32 v52, v213, v55, 1                               // 000000005BA0: D1FF0034 02066FD5
	v_cndmask_b32_e64 v57, v52, v54, s[48:49]                  // 000000005BA8: D1000039 00C26D34
	v_perm_b32 v202, v57, v56, s52                             // 000000005BB0: D1ED00CA 00D27139
	v_cmp_u_f32_e64 s[48:49], v214, v214                       // 000000005BB8: D0480030 0003ADD6
	v_add3_u32 v52, v214, v55, 1                               // 000000005BC0: D1FF0034 02066FD6
	v_cndmask_b32_e64 v56, v52, v54, s[48:49]                  // 000000005BC8: D1000038 00C26D34
	v_cmp_u_f32_e64 s[48:49], v215, v215                       // 000000005BD0: D0480030 0003AFD7
	v_add3_u32 v52, v215, v55, 1                               // 000000005BD8: D1FF0034 02066FD7
	v_cndmask_b32_e64 v57, v52, v54, s[48:49]                  // 000000005BE0: D1000039 00C26D34
	v_perm_b32 v203, v57, v56, s52                             // 000000005BE8: D1ED00CB 00D27139
	v_cmp_u_f32_e64 s[48:49], v216, v216                       // 000000005BF0: D0480030 0003B1D8
	v_add3_u32 v52, v216, v55, 1                               // 000000005BF8: D1FF0034 02066FD8
	v_cndmask_b32_e64 v56, v52, v54, s[48:49]                  // 000000005C00: D1000038 00C26D34
	v_cmp_u_f32_e64 s[48:49], v217, v217                       // 000000005C08: D0480030 0003B3D9
	v_add3_u32 v52, v217, v55, 1                               // 000000005C10: D1FF0034 02066FD9
	v_cndmask_b32_e64 v57, v52, v54, s[48:49]                  // 000000005C18: D1000039 00C26D34
	v_perm_b32 v204, v57, v56, s52                             // 000000005C20: D1ED00CC 00D27139
	v_cmp_u_f32_e64 s[48:49], v218, v218                       // 000000005C28: D0480030 0003B5DA
	v_add3_u32 v52, v218, v55, 1                               // 000000005C30: D1FF0034 02066FDA
	v_cndmask_b32_e64 v56, v52, v54, s[48:49]                  // 000000005C38: D1000038 00C26D34
	v_cmp_u_f32_e64 s[48:49], v219, v219                       // 000000005C40: D0480030 0003B7DB
	v_add3_u32 v52, v219, v55, 1                               // 000000005C48: D1FF0034 02066FDB
	v_cndmask_b32_e64 v57, v52, v54, s[48:49]                  // 000000005C50: D1000039 00C26D34
	v_perm_b32 v205, v57, v56, s52                             // 000000005C58: D1ED00CD 00D27139
	v_cmp_u_f32_e64 s[48:49], v220, v220                       // 000000005C60: D0480030 0003B9DC
	v_add3_u32 v52, v220, v55, 1                               // 000000005C68: D1FF0034 02066FDC
	v_cndmask_b32_e64 v56, v52, v54, s[48:49]                  // 000000005C70: D1000038 00C26D34
	v_cmp_u_f32_e64 s[48:49], v221, v221                       // 000000005C78: D0480030 0003BBDD
	v_add3_u32 v52, v221, v55, 1                               // 000000005C80: D1FF0034 02066FDD
	v_cndmask_b32_e64 v57, v52, v54, s[48:49]                  // 000000005C88: D1000039 00C26D34
	v_perm_b32 v206, v57, v56, s52                             // 000000005C90: D1ED00CE 00D27139
	v_cmp_u_f32_e64 s[48:49], v222, v222                       // 000000005C98: D0480030 0003BDDE
	v_add3_u32 v52, v222, v55, 1                               // 000000005CA0: D1FF0034 02066FDE
	v_cndmask_b32_e64 v56, v52, v54, s[48:49]                  // 000000005CA8: D1000038 00C26D34
	v_cmp_u_f32_e64 s[48:49], v223, v223                       // 000000005CB0: D0480030 0003BFDF
	v_add3_u32 v52, v223, v55, 1                               // 000000005CB8: D1FF0034 02066FDF
	v_cndmask_b32_e64 v57, v52, v54, s[48:49]                  // 000000005CC0: D1000039 00C26D34
	v_perm_b32 v207, v57, v56, s52                             // 000000005CC8: D1ED00CF 00D27139
	s_cmp_ge_u32 s80, 0x200                                    // 000000005CD0: BF09FF50 00000200
	s_cselect_b32 s59, 0x200, s59                              // 000000005CD8: 853B3BFF 00000200
	s_mov_b64 exec, s[20:21]                                   // 000000005CE0: BEFE0114
	global_atomic_pk_add_bf16 v80, v64, s[8:9]                 // 000000005CE4: DD488000 00084050
	s_mov_b64 exec, s[36:37]                                   // 000000005CEC: BEFE0124
	s_mov_b64 exec, s[20:21]                                   // 000000005CF0: BEFE0114
	global_atomic_pk_add_bf16 v80, v65, s[8:9] offset:256      // 000000005CF4: DD488100 00084150
	s_mov_b64 exec, s[36:37]                                   // 000000005CFC: BEFE0124
	s_mov_b64 exec, s[22:23]                                   // 000000005D00: BEFE0116
	global_atomic_pk_add_bf16 v82, v66, s[8:9]                 // 000000005D04: DD488000 00084252
	s_mov_b64 exec, s[36:37]                                   // 000000005D0C: BEFE0124
	s_mov_b64 exec, s[22:23]                                   // 000000005D10: BEFE0116
	global_atomic_pk_add_bf16 v82, v67, s[8:9] offset:256      // 000000005D14: DD488100 00084352
	s_mov_b64 exec, s[36:37]                                   // 000000005D1C: BEFE0124
	s_mov_b64 exec, s[24:25]                                   // 000000005D20: BEFE0118
	global_atomic_pk_add_bf16 v84, v68, s[8:9]                 // 000000005D24: DD488000 00084454
	s_mov_b64 exec, s[36:37]                                   // 000000005D2C: BEFE0124
	s_mov_b64 exec, s[24:25]                                   // 000000005D30: BEFE0118
	global_atomic_pk_add_bf16 v84, v69, s[8:9] offset:256      // 000000005D34: DD488100 00084554
	s_mov_b64 exec, s[36:37]                                   // 000000005D3C: BEFE0124
	s_mov_b64 exec, s[26:27]                                   // 000000005D40: BEFE011A
	global_atomic_pk_add_bf16 v86, v70, s[8:9]                 // 000000005D44: DD488000 00084656
	s_mov_b64 exec, s[36:37]                                   // 000000005D4C: BEFE0124
	s_mov_b64 exec, s[26:27]                                   // 000000005D50: BEFE011A
	global_atomic_pk_add_bf16 v86, v71, s[8:9] offset:256      // 000000005D54: DD488100 00084756
	s_mov_b64 exec, s[36:37]                                   // 000000005D5C: BEFE0124
	s_mov_b64 exec, s[28:29]                                   // 000000005D60: BEFE011C
	global_atomic_pk_add_bf16 v88, v72, s[8:9]                 // 000000005D64: DD488000 00084858
	s_mov_b64 exec, s[36:37]                                   // 000000005D6C: BEFE0124
	s_mov_b64 exec, s[28:29]                                   // 000000005D70: BEFE011C
	global_atomic_pk_add_bf16 v88, v73, s[8:9] offset:256      // 000000005D74: DD488100 00084958
	s_mov_b64 exec, s[36:37]                                   // 000000005D7C: BEFE0124
	s_mov_b64 exec, s[30:31]                                   // 000000005D80: BEFE011E
	global_atomic_pk_add_bf16 v90, v74, s[8:9]                 // 000000005D84: DD488000 00084A5A
	s_mov_b64 exec, s[36:37]                                   // 000000005D8C: BEFE0124
	s_mov_b64 exec, s[30:31]                                   // 000000005D90: BEFE011E
	global_atomic_pk_add_bf16 v90, v75, s[8:9] offset:256      // 000000005D94: DD488100 00084B5A
	s_mov_b64 exec, s[36:37]                                   // 000000005D9C: BEFE0124
	s_mov_b64 exec, s[32:33]                                   // 000000005DA0: BEFE0120
	global_atomic_pk_add_bf16 v92, v76, s[8:9]                 // 000000005DA4: DD488000 00084C5C
	s_mov_b64 exec, s[36:37]                                   // 000000005DAC: BEFE0124
	s_mov_b64 exec, s[32:33]                                   // 000000005DB0: BEFE0120
	global_atomic_pk_add_bf16 v92, v77, s[8:9] offset:256      // 000000005DB4: DD488100 00084D5C
	s_mov_b64 exec, s[36:37]                                   // 000000005DBC: BEFE0124
	s_mov_b64 exec, s[34:35]                                   // 000000005DC0: BEFE0122
	global_atomic_pk_add_bf16 v94, v78, s[8:9]                 // 000000005DC4: DD488000 00084E5E
	s_mov_b64 exec, s[36:37]                                   // 000000005DCC: BEFE0124
	s_mov_b64 exec, s[34:35]                                   // 000000005DD0: BEFE0122
	global_atomic_pk_add_bf16 v94, v79, s[8:9] offset:256      // 000000005DD4: DD488100 00084F5E
	s_mov_b64 exec, s[36:37]                                   // 000000005DDC: BEFE0124
	s_add_u32 s8, s59, s8                                      // 000000005DE0: 8008083B
	s_addc_u32 s9, 0, s9                                       // 000000005DE4: 82090980
	s_addk_i32 s80, 0x100                                      // 000000005DE8: B7500100
	s_cmp_lt_i32 s80, s81                                      // 000000005DEC: BF045150
	s_cbranch_scc0 label_0F4A                                  // 000000005DF0: BF84028D
	s_waitcnt vmcnt(28) lgkmcnt(0)                             // 000000005DF4: BF8C407C
	s_barrier                                                  // 000000005DF8: BF8A0000
	v_mfma_f32_16x16x32_fp8_fp8 v[224:227], a[64:65], v[128:129], 0// 000000005DFC: D3F300E0 0A030140
	ds_read_b32 v64, v5 offset:38144                           // 000000005E04: D86C9500 40000005
	ds_read_b32 v65, v5 offset:42496                           // 000000005E0C: D86CA600 41000005
	v_mfma_f32_16x16x32_fp8_fp8 v[224:227], a[66:67], v[130:131], v[224:227]// 000000005E14: D3F300E0 0F830542
	buffer_load_dwordx4 a[0:3], v48, s[12:15], 0 offen         // 000000005E1C: E05C1000 80830030
	v_mfma_f32_16x16x32_fp8_fp8 v[228:231], a[64:65], v[144:145], 0// 000000005E24: D3F300E4 0A032140
	ds_read_b32 v66, v5 offset:38176                           // 000000005E2C: D86C9520 42000005
	ds_read_b32 v67, v5 offset:42528                           // 000000005E34: D86CA620 43000005
	v_mfma_f32_16x16x32_fp8_fp8 v[228:231], a[66:67], v[146:147], v[228:231]// 000000005E3C: D3F300E4 0F932542
	buffer_load_dword v23, v6, s[16:19], 0 offen               // 000000005E44: E0501000 80041706
	v_mfma_f32_16x16x32_fp8_fp8 v[232:235], a[68:69], v[128:129], 0// 000000005E4C: D3F300E8 0A030144
	ds_read_b32 v68, v5 offset:38208                           // 000000005E54: D86C9540 44000005
	ds_read_b32 v69, v5 offset:42560                           // 000000005E5C: D86CA640 45000005
	v_mfma_f32_16x16x32_fp8_fp8 v[232:235], a[70:71], v[130:131], v[232:235]// 000000005E64: D3F300E8 0FA30546
	buffer_load_dwordx4 a[4:7], v49, s[12:15], 0 offen         // 000000005E6C: E05C1000 80830431
	v_mfma_f32_16x16x32_fp8_fp8 v[236:239], a[68:69], v[144:145], 0// 000000005E74: D3F300EC 0A032144
	ds_read_b32 v70, v5 offset:38240                           // 000000005E7C: D86C9560 46000005
	ds_read_b32 v71, v5 offset:42592                           // 000000005E84: D86CA660 47000005
	v_mfma_f32_16x16x32_fp8_fp8 v[236:239], a[70:71], v[146:147], v[236:239]// 000000005E8C: D3F300EC 0FB32546
	v_mfma_f32_16x16x32_fp8_fp8 v[240:243], a[72:73], v[128:129], 0// 000000005E94: D3F300F0 0A030148
	ds_read_b32 v72, v5 offset:46848                           // 000000005E9C: D86CB700 48000005
	ds_read_b32 v73, v5 offset:51200                           // 000000005EA4: D86CC800 49000005
	v_mfma_f32_16x16x32_fp8_fp8 v[240:243], a[74:75], v[130:131], v[240:243]// 000000005EAC: D3F300F0 0FC3054A
	buffer_load_dwordx4 a[8:11], v50, s[12:15], 0 offen        // 000000005EB4: E05C1000 80830832
	v_mfma_f32_16x16x32_fp8_fp8 v[244:247], a[72:73], v[144:145], 0// 000000005EBC: D3F300F4 0A032148
	ds_read_b32 v74, v5 offset:46880                           // 000000005EC4: D86CB720 4A000005
	ds_read_b32 v75, v5 offset:51232                           // 000000005ECC: D86CC820 4B000005
	v_mfma_f32_16x16x32_fp8_fp8 v[244:247], a[74:75], v[146:147], v[244:247]// 000000005ED4: D3F300F4 0FD3254A
	v_mfma_f32_16x16x32_fp8_fp8 v[248:251], a[76:77], v[128:129], 0// 000000005EDC: D3F300F8 0A03014C
	ds_read_b32 v76, v5 offset:46912                           // 000000005EE4: D86CB740 4C000005
	ds_read_b32 v77, v5 offset:51264                           // 000000005EEC: D86CC840 4D000005
	v_mfma_f32_16x16x32_fp8_fp8 v[248:251], a[78:79], v[130:131], v[248:251]// 000000005EF4: D3F300F8 0FE3054E
	buffer_load_dwordx4 a[12:15], v51, s[12:15], 0 offen       // 000000005EFC: E05C1000 80830C33
	s_add_u32 s12, s78, s12                                    // 000000005F04: 800C0C4E
	s_addc_u32 s13, 0, s13                                     // 000000005F08: 820D0D80
	v_mfma_f32_16x16x32_fp8_fp8 v[252:255], a[76:77], v[144:145], 0// 000000005F0C: D3F300FC 0A03214C
	ds_read_b32 v78, v5 offset:46944                           // 000000005F14: D86CB760 4E000005
	ds_read_b32 v79, v5 offset:51296                           // 000000005F1C: D86CC860 4F000005
	v_mfma_f32_16x16x32_fp8_fp8 v[252:255], a[78:79], v[146:147], v[252:255]// 000000005F24: D3F300FC 0FF3254E
	s_waitcnt vmcnt(29)                                        // 000000005F2C: BF8C4F7D
	v_mfma_f32_16x16x32_fp8_fp8 v[224:227], a[80:81], v[132:133], v[224:227]// 000000005F30: D3F300E0 0F830950
	v_mfma_f32_16x16x32_fp8_fp8 v[224:227], a[82:83], v[134:135], v[224:227]// 000000005F38: D3F300E0 0F830D52
	buffer_load_dwordx4 a[16:19], v48, s[12:15], 0 offen       // 000000005F40: E05C1000 80831030
	v_mfma_f32_16x16x32_fp8_fp8 v[228:231], a[80:81], v[148:149], v[228:231]// 000000005F48: D3F300E4 0F932950
	v_mfma_f32_16x16x32_fp8_fp8 v[228:231], a[82:83], v[150:151], v[228:231]// 000000005F50: D3F300E4 0F932D52
	v_mfma_f32_16x16x32_fp8_fp8 v[232:235], a[84:85], v[132:133], v[232:235]// 000000005F58: D3F300E8 0FA30954
	v_mfma_f32_16x16x32_fp8_fp8 v[232:235], a[86:87], v[134:135], v[232:235]// 000000005F60: D3F300E8 0FA30D56
	buffer_load_dwordx4 a[20:23], v49, s[12:15], 0 offen       // 000000005F68: E05C1000 80831431
	v_mfma_f32_16x16x32_fp8_fp8 v[236:239], a[84:85], v[148:149], v[236:239]// 000000005F70: D3F300EC 0FB32954
	v_mfma_f32_16x16x32_fp8_fp8 v[236:239], a[86:87], v[150:151], v[236:239]// 000000005F78: D3F300EC 0FB32D56
	v_mfma_f32_16x16x32_fp8_fp8 v[240:243], a[88:89], v[132:133], v[240:243]// 000000005F80: D3F300F0 0FC30958
	v_mfma_f32_16x16x32_fp8_fp8 v[240:243], a[90:91], v[134:135], v[240:243]// 000000005F88: D3F300F0 0FC30D5A
	buffer_load_dwordx4 a[24:27], v50, s[12:15], 0 offen       // 000000005F90: E05C1000 80831832
	v_mfma_f32_16x16x32_fp8_fp8 v[244:247], a[88:89], v[148:149], v[244:247]// 000000005F98: D3F300F4 0FD32958
	v_mfma_f32_16x16x32_fp8_fp8 v[244:247], a[90:91], v[150:151], v[244:247]// 000000005FA0: D3F300F4 0FD32D5A
	v_mfma_f32_16x16x32_fp8_fp8 v[248:251], a[92:93], v[132:133], v[248:251]// 000000005FA8: D3F300F8 0FE3095C
	v_mfma_f32_16x16x32_fp8_fp8 v[248:251], a[94:95], v[134:135], v[248:251]// 000000005FB0: D3F300F8 0FE30D5E
	buffer_load_dwordx4 a[28:31], v51, s[12:15], 0 offen       // 000000005FB8: E05C1000 80831C33
	s_add_u32 s12, s78, s12                                    // 000000005FC0: 800C0C4E
	s_addc_u32 s13, 0, s13                                     // 000000005FC4: 820D0D80
	v_mfma_f32_16x16x32_fp8_fp8 v[252:255], a[92:93], v[148:149], v[252:255]// 000000005FC8: D3F300FC 0FF3295C
	v_mfma_f32_16x16x32_fp8_fp8 v[252:255], a[94:95], v[150:151], v[252:255]// 000000005FD0: D3F300FC 0FF32D5E
	v_mul_f32_dpp v56, v24, v32 row_newbcast:0 row_mask:0xf bank_mask:0xf// 000000005FD8: 0A7040FA FF015018
	v_mov_b32_e32 v57, v56                                     // 000000005FE0: 7E720338
	v_pk_mul_f32 v[224:225], v[56:57], v[224:225]              // 000000005FE4: D3B140E0 1803C138
	v_pk_mul_f32 v[226:227], v[56:57], v[226:227]              // 000000005FEC: D3B140E2 1803C538
	v_pk_mul_f32 v[232:233], v[56:57], v[232:233]              // 000000005FF4: D3B140E8 1803D138
	v_pk_mul_f32 v[234:235], v[56:57], v[234:235]              // 000000005FFC: D3B140EA 1803D538
	v_mul_f32_dpp v56, v24, v32 row_newbcast:1 row_mask:0xf bank_mask:0xf// 000000006004: 0A7040FA FF015118
	v_mov_b32_e32 v57, v56                                     // 00000000600C: 7E720338
	v_pk_mul_f32 v[240:241], v[56:57], v[240:241]              // 000000006010: D3B140F0 1803E138
	v_pk_mul_f32 v[242:243], v[56:57], v[242:243]              // 000000006018: D3B140F2 1803E538
	v_pk_mul_f32 v[248:249], v[56:57], v[248:249]              // 000000006020: D3B140F8 1803F138
	v_pk_mul_f32 v[250:251], v[56:57], v[250:251]              // 000000006028: D3B140FA 1803F538
	v_mul_f32_dpp v56, v24, v33 row_newbcast:0 row_mask:0xf bank_mask:0xf// 000000006030: 0A7042FA FF015018
	v_mov_b32_e32 v57, v56                                     // 000000006038: 7E720338
	v_pk_mul_f32 v[228:229], v[56:57], v[228:229]              // 00000000603C: D3B140E4 1803C938
	v_pk_mul_f32 v[230:231], v[56:57], v[230:231]              // 000000006044: D3B140E6 1803CD38
	v_pk_mul_f32 v[236:237], v[56:57], v[236:237]              // 00000000604C: D3B140EC 1803D938
	v_pk_mul_f32 v[238:239], v[56:57], v[238:239]              // 000000006054: D3B140EE 1803DD38
	v_mul_f32_dpp v56, v24, v33 row_newbcast:1 row_mask:0xf bank_mask:0xf// 00000000605C: 0A7042FA FF015118
	v_mov_b32_e32 v57, v56                                     // 000000006064: 7E720338
	v_pk_mul_f32 v[244:245], v[56:57], v[244:245]              // 000000006068: D3B140F4 1803E938
	v_pk_mul_f32 v[246:247], v[56:57], v[246:247]              // 000000006070: D3B140F6 1803ED38
	v_pk_mul_f32 v[252:253], v[56:57], v[252:253]              // 000000006078: D3B140FC 1803F938
	v_pk_mul_f32 v[254:255], v[56:57], v[254:255]              // 000000006080: D3B140FE 1803FD38
	s_waitcnt vmcnt(29)                                        // 000000006088: BF8C4F7D
	v_mfma_f32_16x16x32_fp8_fp8 v[160:163], a[96:97], v[136:137], 0// 00000000608C: D3F300A0 0A031160
	ds_write_b64 v4, v[192:193] offset:20736                   // 000000006094: D89A5100 0000C004
	v_mfma_f32_16x16x32_fp8_fp8 v[160:163], a[98:99], v[138:139], v[160:163]// 00000000609C: D3F300A0 0E831562
	buffer_load_dwordx4 a[32:35], v48, s[12:15], 0 offen       // 0000000060A4: E05C1000 80832030
	v_mfma_f32_16x16x32_fp8_fp8 v[164:167], a[96:97], v[152:153], 0// 0000000060AC: D3F300A4 0A033160
	ds_write_b64 v4, v[194:195] offset:29440                   // 0000000060B4: D89A7300 0000C204
	v_mfma_f32_16x16x32_fp8_fp8 v[164:167], a[98:99], v[154:155], v[164:167]// 0000000060BC: D3F300A4 0E933562
	v_mfma_f32_16x16x32_fp8_fp8 v[168:171], a[100:101], v[136:137], 0// 0000000060C4: D3F300A8 0A031164
	ds_write_b64 v4, v[196:197] offset:22912                   // 0000000060CC: D89A5980 0000C404
	v_mfma_f32_16x16x32_fp8_fp8 v[168:171], a[102:103], v[138:139], v[168:171]// 0000000060D4: D3F300A8 0EA31566
	buffer_load_dwordx4 a[36:39], v49, s[12:15], 0 offen       // 0000000060DC: E05C1000 80832431
	v_mfma_f32_16x16x32_fp8_fp8 v[172:175], a[100:101], v[152:153], 0// 0000000060E4: D3F300AC 0A033164
	ds_write_b64 v4, v[198:199] offset:31616                   // 0000000060EC: D89A7B80 0000C604
	v_mfma_f32_16x16x32_fp8_fp8 v[172:175], a[102:103], v[154:155], v[172:175]// 0000000060F4: D3F300AC 0EB33566
	v_mfma_f32_16x16x32_fp8_fp8 v[176:179], a[104:105], v[136:137], 0// 0000000060FC: D3F300B0 0A031168
	ds_write_b64 v4, v[200:201] offset:25088                   // 000000006104: D89A6200 0000C804
	v_mfma_f32_16x16x32_fp8_fp8 v[176:179], a[106:107], v[138:139], v[176:179]// 00000000610C: D3F300B0 0EC3156A
	buffer_load_dwordx4 a[40:43], v50, s[12:15], 0 offen       // 000000006114: E05C1000 80832832
	v_mfma_f32_16x16x32_fp8_fp8 v[180:183], a[104:105], v[152:153], 0// 00000000611C: D3F300B4 0A033168
	ds_write_b64 v4, v[202:203] offset:33792                   // 000000006124: D89A8400 0000CA04
	v_mfma_f32_16x16x32_fp8_fp8 v[180:183], a[106:107], v[154:155], v[180:183]// 00000000612C: D3F300B4 0ED3356A
	v_mfma_f32_16x16x32_fp8_fp8 v[184:187], a[108:109], v[136:137], 0// 000000006134: D3F300B8 0A03116C
	ds_write_b64 v4, v[204:205] offset:27264                   // 00000000613C: D89A6A80 0000CC04
	v_mfma_f32_16x16x32_fp8_fp8 v[184:187], a[110:111], v[138:139], v[184:187]// 000000006144: D3F300B8 0EE3156E
	buffer_load_dwordx4 a[44:47], v51, s[12:15], 0 offen       // 00000000614C: E05C1000 80832C33
	s_add_u32 s12, s78, s12                                    // 000000006154: 800C0C4E
	s_addc_u32 s13, 0, s13                                     // 000000006158: 820D0D80
	v_mfma_f32_16x16x32_fp8_fp8 v[188:191], a[108:109], v[152:153], 0// 00000000615C: D3F300BC 0A03316C
	ds_write_b64 v4, v[206:207] offset:35968                   // 000000006164: D89A8C80 0000CE04
	v_mfma_f32_16x16x32_fp8_fp8 v[188:191], a[110:111], v[154:155], v[188:191]// 00000000616C: D3F300BC 0EF3356E
	s_waitcnt vmcnt(29)                                        // 000000006174: BF8C4F7D
	v_mfma_f32_16x16x32_fp8_fp8 v[160:163], a[112:113], v[140:141], v[160:163]// 000000006178: D3F300A0 0E831970
	v_mfma_f32_16x16x32_fp8_fp8 v[160:163], a[114:115], v[142:143], v[160:163]// 000000006180: D3F300A0 0E831D72
	buffer_load_dwordx4 a[48:51], v48, s[12:15], 0 offen       // 000000006188: E05C1000 80833030
	v_mfma_f32_16x16x32_fp8_fp8 v[164:167], a[112:113], v[156:157], v[164:167]// 000000006190: D3F300A4 0E933970
	v_mfma_f32_16x16x32_fp8_fp8 v[164:167], a[114:115], v[158:159], v[164:167]// 000000006198: D3F300A4 0E933D72
	v_mfma_f32_16x16x32_fp8_fp8 v[168:171], a[116:117], v[140:141], v[168:171]// 0000000061A0: D3F300A8 0EA31974
	v_mfma_f32_16x16x32_fp8_fp8 v[168:171], a[118:119], v[142:143], v[168:171]// 0000000061A8: D3F300A8 0EA31D76
	buffer_load_dwordx4 a[52:55], v49, s[12:15], 0 offen       // 0000000061B0: E05C1000 80833431
	v_mfma_f32_16x16x32_fp8_fp8 v[172:175], a[116:117], v[156:157], v[172:175]// 0000000061B8: D3F300AC 0EB33974
	v_mfma_f32_16x16x32_fp8_fp8 v[172:175], a[118:119], v[158:159], v[172:175]// 0000000061C0: D3F300AC 0EB33D76
	v_mfma_f32_16x16x32_fp8_fp8 v[176:179], a[120:121], v[140:141], v[176:179]// 0000000061C8: D3F300B0 0EC31978
	v_mfma_f32_16x16x32_fp8_fp8 v[176:179], a[122:123], v[142:143], v[176:179]// 0000000061D0: D3F300B0 0EC31D7A
	buffer_load_dwordx4 a[56:59], v50, s[12:15], 0 offen       // 0000000061D8: E05C1000 80833832
	v_mfma_f32_16x16x32_fp8_fp8 v[180:183], a[120:121], v[156:157], v[180:183]// 0000000061E0: D3F300B4 0ED33978
	v_mfma_f32_16x16x32_fp8_fp8 v[180:183], a[122:123], v[158:159], v[180:183]// 0000000061E8: D3F300B4 0ED33D7A
	v_mfma_f32_16x16x32_fp8_fp8 v[184:187], a[124:125], v[140:141], v[184:187]// 0000000061F0: D3F300B8 0EE3197C
	v_mfma_f32_16x16x32_fp8_fp8 v[184:187], a[126:127], v[142:143], v[184:187]// 0000000061F8: D3F300B8 0EE31D7E
	buffer_load_dwordx4 a[60:63], v51, s[12:15], 0 offen       // 000000006200: E05C1000 80833C33
	v_mfma_f32_16x16x32_fp8_fp8 v[188:191], a[124:125], v[156:157], v[188:191]// 000000006208: D3F300BC 0EF3397C
	v_mfma_f32_16x16x32_fp8_fp8 v[188:191], a[126:127], v[158:159], v[188:191]// 000000006210: D3F300BC 0EF33D7E
	v_mul_f32_dpp v56, v24, v34 row_newbcast:2 row_mask:0xf bank_mask:0xf// 000000006218: 0A7044FA FF015218
	v_mov_b32_e32 v57, v56                                     // 000000006220: 7E720338
	v_pk_fma_f32 v[224:225], v[160:161], v[56:57], v[224:225]  // 000000006224: D3B040E0 1F8271A0
	v_pk_fma_f32 v[226:227], v[162:163], v[56:57], v[226:227]  // 00000000622C: D3B040E2 1F8A71A2
	v_pk_fma_f32 v[232:233], v[168:169], v[56:57], v[232:233]  // 000000006234: D3B040E8 1FA271A8
	v_pk_fma_f32 v[234:235], v[170:171], v[56:57], v[234:235]  // 00000000623C: D3B040EA 1FAA71AA
	v_mul_f32_dpp v56, v24, v34 row_newbcast:3 row_mask:0xf bank_mask:0xf// 000000006244: 0A7044FA FF015318
	v_mov_b32_e32 v57, v56                                     // 00000000624C: 7E720338
	v_pk_fma_f32 v[240:241], v[176:177], v[56:57], v[240:241]  // 000000006250: D3B040F0 1FC271B0
	v_pk_fma_f32 v[242:243], v[178:179], v[56:57], v[242:243]  // 000000006258: D3B040F2 1FCA71B2
	v_pk_fma_f32 v[248:249], v[184:185], v[56:57], v[248:249]  // 000000006260: D3B040F8 1FE271B8
	v_pk_fma_f32 v[250:251], v[186:187], v[56:57], v[250:251]  // 000000006268: D3B040FA 1FEA71BA
	v_mul_f32_dpp v56, v24, v35 row_newbcast:2 row_mask:0xf bank_mask:0xf// 000000006270: 0A7046FA FF015218
	v_mov_b32_e32 v57, v56                                     // 000000006278: 7E720338
	v_pk_fma_f32 v[228:229], v[164:165], v[56:57], v[228:229]  // 00000000627C: D3B040E4 1F9271A4
	v_pk_fma_f32 v[230:231], v[166:167], v[56:57], v[230:231]  // 000000006284: D3B040E6 1F9A71A6
	v_pk_fma_f32 v[236:237], v[172:173], v[56:57], v[236:237]  // 00000000628C: D3B040EC 1FB271AC
	v_pk_fma_f32 v[238:239], v[174:175], v[56:57], v[238:239]  // 000000006294: D3B040EE 1FBA71AE
	v_mul_f32_dpp v56, v24, v35 row_newbcast:3 row_mask:0xf bank_mask:0xf// 00000000629C: 0A7046FA FF015318
	v_mov_b32_e32 v57, v56                                     // 0000000062A4: 7E720338
	v_pk_fma_f32 v[244:245], v[180:181], v[56:57], v[244:245]  // 0000000062A8: D3B040F4 1FD271B4
	v_pk_fma_f32 v[246:247], v[182:183], v[56:57], v[246:247]  // 0000000062B0: D3B040F6 1FDA71B6
	v_pk_fma_f32 v[252:253], v[188:189], v[56:57], v[252:253]  // 0000000062B8: D3B040FC 1FF271BC
	v_pk_fma_f32 v[254:255], v[190:191], v[56:57], v[254:255]  // 0000000062C0: D3B040FE 1FFA71BE
	s_add_u32 s60, 0x200, s80                                  // 0000000062C8: 803C50FF 00000200
	s_cmp_lt_u32 s60, s81                                      // 0000000062D0: BF0A513C
	s_cselect_b32 s56, s56, 0                                  // 0000000062D4: 85388038
	s_cselect_b32 s78, s78, 0                                  // 0000000062D8: 854E804E
	s_cselect_b32 s79, s79, 0                                  // 0000000062DC: 854F804F
	s_add_u32 s12, s56, s12                                    // 0000000062E0: 800C0C38
	s_addc_u32 s13, 0, s13                                     // 0000000062E4: 820D0D80
	s_add_u32 s16, s79, s16                                    // 0000000062E8: 8010104F
	s_addc_u32 s17, 0, s17                                     // 0000000062EC: 82111180
	v_mov_b32_e32 v56, v25                                     // 0000000062F0: 7E700319
	v_mov_b32_e32 v57, v25                                     // 0000000062F4: 7E720319
	v_pk_mul_f32 v[224:225], v[56:57], v[224:225]              // 0000000062F8: D3B140E0 1803C138
	v_pk_mul_f32 v[226:227], v[56:57], v[226:227]              // 000000006300: D3B140E2 1803C538
	v_pk_mul_f32 v[232:233], v[56:57], v[232:233]              // 000000006308: D3B140E8 1803D138
	v_pk_mul_f32 v[234:235], v[56:57], v[234:235]              // 000000006310: D3B140EA 1803D538
	v_pk_mul_f32 v[240:241], v[56:57], v[240:241]              // 000000006318: D3B140F0 1803E138
	v_pk_mul_f32 v[242:243], v[56:57], v[242:243]              // 000000006320: D3B140F2 1803E538
	v_pk_mul_f32 v[248:249], v[56:57], v[248:249]              // 000000006328: D3B140F8 1803F138
	v_pk_mul_f32 v[250:251], v[56:57], v[250:251]              // 000000006330: D3B140FA 1803F538
	v_mov_b32_e32 v56, v26                                     // 000000006338: 7E70031A
	v_mov_b32_e32 v57, v26                                     // 00000000633C: 7E72031A
	v_pk_mul_f32 v[228:229], v[56:57], v[228:229]              // 000000006340: D3B140E4 1803C938
	v_pk_mul_f32 v[230:231], v[56:57], v[230:231]              // 000000006348: D3B140E6 1803CD38
	v_pk_mul_f32 v[236:237], v[56:57], v[236:237]              // 000000006350: D3B140EC 1803D938
	v_pk_mul_f32 v[238:239], v[56:57], v[238:239]              // 000000006358: D3B140EE 1803DD38
	v_pk_mul_f32 v[244:245], v[56:57], v[244:245]              // 000000006360: D3B140F4 1803E938
	v_pk_mul_f32 v[246:247], v[56:57], v[246:247]              // 000000006368: D3B140F6 1803ED38
	v_pk_mul_f32 v[252:253], v[56:57], v[252:253]              // 000000006370: D3B140FC 1803F938
	v_pk_mul_f32 v[254:255], v[56:57], v[254:255]              // 000000006378: D3B140FE 1803FD38
	v_cmp_u_f32_e64 s[48:49], v224, v224                       // 000000006380: D0480030 0003C1E0
	v_add3_u32 v52, v224, v55, 1                               // 000000006388: D1FF0034 02066FE0
	v_cndmask_b32_e64 v56, v52, v54, s[48:49]                  // 000000006390: D1000038 00C26D34
	v_cmp_u_f32_e64 s[48:49], v225, v225                       // 000000006398: D0480030 0003C3E1
	v_add3_u32 v52, v225, v55, 1                               // 0000000063A0: D1FF0034 02066FE1
	v_cndmask_b32_e64 v57, v52, v54, s[48:49]                  // 0000000063A8: D1000039 00C26D34
	v_perm_b32 v224, v57, v56, s52                             // 0000000063B0: D1ED00E0 00D27139
	v_cmp_u_f32_e64 s[48:49], v226, v226                       // 0000000063B8: D0480030 0003C5E2
	v_add3_u32 v52, v226, v55, 1                               // 0000000063C0: D1FF0034 02066FE2
	v_cndmask_b32_e64 v56, v52, v54, s[48:49]                  // 0000000063C8: D1000038 00C26D34
	v_cmp_u_f32_e64 s[48:49], v227, v227                       // 0000000063D0: D0480030 0003C7E3
	v_add3_u32 v52, v227, v55, 1                               // 0000000063D8: D1FF0034 02066FE3
	v_cndmask_b32_e64 v57, v52, v54, s[48:49]                  // 0000000063E0: D1000039 00C26D34
	v_perm_b32 v225, v57, v56, s52                             // 0000000063E8: D1ED00E1 00D27139
	v_cmp_u_f32_e64 s[48:49], v228, v228                       // 0000000063F0: D0480030 0003C9E4
	v_add3_u32 v52, v228, v55, 1                               // 0000000063F8: D1FF0034 02066FE4
	v_cndmask_b32_e64 v56, v52, v54, s[48:49]                  // 000000006400: D1000038 00C26D34
	v_cmp_u_f32_e64 s[48:49], v229, v229                       // 000000006408: D0480030 0003CBE5
	v_add3_u32 v52, v229, v55, 1                               // 000000006410: D1FF0034 02066FE5
	v_cndmask_b32_e64 v57, v52, v54, s[48:49]                  // 000000006418: D1000039 00C26D34
	v_perm_b32 v226, v57, v56, s52                             // 000000006420: D1ED00E2 00D27139
	v_cmp_u_f32_e64 s[48:49], v230, v230                       // 000000006428: D0480030 0003CDE6
	v_add3_u32 v52, v230, v55, 1                               // 000000006430: D1FF0034 02066FE6
	v_cndmask_b32_e64 v56, v52, v54, s[48:49]                  // 000000006438: D1000038 00C26D34
	v_cmp_u_f32_e64 s[48:49], v231, v231                       // 000000006440: D0480030 0003CFE7
	v_add3_u32 v52, v231, v55, 1                               // 000000006448: D1FF0034 02066FE7
	v_cndmask_b32_e64 v57, v52, v54, s[48:49]                  // 000000006450: D1000039 00C26D34
	v_perm_b32 v227, v57, v56, s52                             // 000000006458: D1ED00E3 00D27139
	v_cmp_u_f32_e64 s[48:49], v232, v232                       // 000000006460: D0480030 0003D1E8
	v_add3_u32 v52, v232, v55, 1                               // 000000006468: D1FF0034 02066FE8
	v_cndmask_b32_e64 v56, v52, v54, s[48:49]                  // 000000006470: D1000038 00C26D34
	v_cmp_u_f32_e64 s[48:49], v233, v233                       // 000000006478: D0480030 0003D3E9
	v_add3_u32 v52, v233, v55, 1                               // 000000006480: D1FF0034 02066FE9
	v_cndmask_b32_e64 v57, v52, v54, s[48:49]                  // 000000006488: D1000039 00C26D34
	v_perm_b32 v228, v57, v56, s52                             // 000000006490: D1ED00E4 00D27139
	v_cmp_u_f32_e64 s[48:49], v234, v234                       // 000000006498: D0480030 0003D5EA
	v_add3_u32 v52, v234, v55, 1                               // 0000000064A0: D1FF0034 02066FEA
	v_cndmask_b32_e64 v56, v52, v54, s[48:49]                  // 0000000064A8: D1000038 00C26D34
	v_cmp_u_f32_e64 s[48:49], v235, v235                       // 0000000064B0: D0480030 0003D7EB
	v_add3_u32 v52, v235, v55, 1                               // 0000000064B8: D1FF0034 02066FEB
	v_cndmask_b32_e64 v57, v52, v54, s[48:49]                  // 0000000064C0: D1000039 00C26D34
	v_perm_b32 v229, v57, v56, s52                             // 0000000064C8: D1ED00E5 00D27139
	v_cmp_u_f32_e64 s[48:49], v236, v236                       // 0000000064D0: D0480030 0003D9EC
	v_add3_u32 v52, v236, v55, 1                               // 0000000064D8: D1FF0034 02066FEC
	v_cndmask_b32_e64 v56, v52, v54, s[48:49]                  // 0000000064E0: D1000038 00C26D34
	v_cmp_u_f32_e64 s[48:49], v237, v237                       // 0000000064E8: D0480030 0003DBED
	v_add3_u32 v52, v237, v55, 1                               // 0000000064F0: D1FF0034 02066FED
	v_cndmask_b32_e64 v57, v52, v54, s[48:49]                  // 0000000064F8: D1000039 00C26D34
	v_perm_b32 v230, v57, v56, s52                             // 000000006500: D1ED00E6 00D27139
	v_cmp_u_f32_e64 s[48:49], v238, v238                       // 000000006508: D0480030 0003DDEE
	v_add3_u32 v52, v238, v55, 1                               // 000000006510: D1FF0034 02066FEE
	v_cndmask_b32_e64 v56, v52, v54, s[48:49]                  // 000000006518: D1000038 00C26D34
	v_cmp_u_f32_e64 s[48:49], v239, v239                       // 000000006520: D0480030 0003DFEF
	v_add3_u32 v52, v239, v55, 1                               // 000000006528: D1FF0034 02066FEF
	v_cndmask_b32_e64 v57, v52, v54, s[48:49]                  // 000000006530: D1000039 00C26D34
	v_perm_b32 v231, v57, v56, s52                             // 000000006538: D1ED00E7 00D27139
	v_cmp_u_f32_e64 s[48:49], v240, v240                       // 000000006540: D0480030 0003E1F0
	v_add3_u32 v52, v240, v55, 1                               // 000000006548: D1FF0034 02066FF0
	v_cndmask_b32_e64 v56, v52, v54, s[48:49]                  // 000000006550: D1000038 00C26D34
	v_cmp_u_f32_e64 s[48:49], v241, v241                       // 000000006558: D0480030 0003E3F1
	v_add3_u32 v52, v241, v55, 1                               // 000000006560: D1FF0034 02066FF1
	v_cndmask_b32_e64 v57, v52, v54, s[48:49]                  // 000000006568: D1000039 00C26D34
	v_perm_b32 v232, v57, v56, s52                             // 000000006570: D1ED00E8 00D27139
	v_cmp_u_f32_e64 s[48:49], v242, v242                       // 000000006578: D0480030 0003E5F2
	v_add3_u32 v52, v242, v55, 1                               // 000000006580: D1FF0034 02066FF2
	v_cndmask_b32_e64 v56, v52, v54, s[48:49]                  // 000000006588: D1000038 00C26D34
	v_cmp_u_f32_e64 s[48:49], v243, v243                       // 000000006590: D0480030 0003E7F3
	v_add3_u32 v52, v243, v55, 1                               // 000000006598: D1FF0034 02066FF3
	v_cndmask_b32_e64 v57, v52, v54, s[48:49]                  // 0000000065A0: D1000039 00C26D34
	v_perm_b32 v233, v57, v56, s52                             // 0000000065A8: D1ED00E9 00D27139
	v_cmp_u_f32_e64 s[48:49], v244, v244                       // 0000000065B0: D0480030 0003E9F4
	v_add3_u32 v52, v244, v55, 1                               // 0000000065B8: D1FF0034 02066FF4
	v_cndmask_b32_e64 v56, v52, v54, s[48:49]                  // 0000000065C0: D1000038 00C26D34
	v_cmp_u_f32_e64 s[48:49], v245, v245                       // 0000000065C8: D0480030 0003EBF5
	v_add3_u32 v52, v245, v55, 1                               // 0000000065D0: D1FF0034 02066FF5
	v_cndmask_b32_e64 v57, v52, v54, s[48:49]                  // 0000000065D8: D1000039 00C26D34
	v_perm_b32 v234, v57, v56, s52                             // 0000000065E0: D1ED00EA 00D27139
	v_cmp_u_f32_e64 s[48:49], v246, v246                       // 0000000065E8: D0480030 0003EDF6
	v_add3_u32 v52, v246, v55, 1                               // 0000000065F0: D1FF0034 02066FF6
	v_cndmask_b32_e64 v56, v52, v54, s[48:49]                  // 0000000065F8: D1000038 00C26D34
	v_cmp_u_f32_e64 s[48:49], v247, v247                       // 000000006600: D0480030 0003EFF7
	v_add3_u32 v52, v247, v55, 1                               // 000000006608: D1FF0034 02066FF7
	v_cndmask_b32_e64 v57, v52, v54, s[48:49]                  // 000000006610: D1000039 00C26D34
	v_perm_b32 v235, v57, v56, s52                             // 000000006618: D1ED00EB 00D27139
	v_cmp_u_f32_e64 s[48:49], v248, v248                       // 000000006620: D0480030 0003F1F8
	v_add3_u32 v52, v248, v55, 1                               // 000000006628: D1FF0034 02066FF8
	v_cndmask_b32_e64 v56, v52, v54, s[48:49]                  // 000000006630: D1000038 00C26D34
	v_cmp_u_f32_e64 s[48:49], v249, v249                       // 000000006638: D0480030 0003F3F9
	v_add3_u32 v52, v249, v55, 1                               // 000000006640: D1FF0034 02066FF9
	v_cndmask_b32_e64 v57, v52, v54, s[48:49]                  // 000000006648: D1000039 00C26D34
	v_perm_b32 v236, v57, v56, s52                             // 000000006650: D1ED00EC 00D27139
	v_cmp_u_f32_e64 s[48:49], v250, v250                       // 000000006658: D0480030 0003F5FA
	v_add3_u32 v52, v250, v55, 1                               // 000000006660: D1FF0034 02066FFA
	v_cndmask_b32_e64 v56, v52, v54, s[48:49]                  // 000000006668: D1000038 00C26D34
	v_cmp_u_f32_e64 s[48:49], v251, v251                       // 000000006670: D0480030 0003F7FB
	v_add3_u32 v52, v251, v55, 1                               // 000000006678: D1FF0034 02066FFB
	v_cndmask_b32_e64 v57, v52, v54, s[48:49]                  // 000000006680: D1000039 00C26D34
	v_perm_b32 v237, v57, v56, s52                             // 000000006688: D1ED00ED 00D27139
	v_cmp_u_f32_e64 s[48:49], v252, v252                       // 000000006690: D0480030 0003F9FC
	v_add3_u32 v52, v252, v55, 1                               // 000000006698: D1FF0034 02066FFC
	v_cndmask_b32_e64 v56, v52, v54, s[48:49]                  // 0000000066A0: D1000038 00C26D34
	v_cmp_u_f32_e64 s[48:49], v253, v253                       // 0000000066A8: D0480030 0003FBFD
	v_add3_u32 v52, v253, v55, 1                               // 0000000066B0: D1FF0034 02066FFD
	v_cndmask_b32_e64 v57, v52, v54, s[48:49]                  // 0000000066B8: D1000039 00C26D34
	v_perm_b32 v238, v57, v56, s52                             // 0000000066C0: D1ED00EE 00D27139
	v_cmp_u_f32_e64 s[48:49], v254, v254                       // 0000000066C8: D0480030 0003FDFE
	v_add3_u32 v52, v254, v55, 1                               // 0000000066D0: D1FF0034 02066FFE
	v_cndmask_b32_e64 v56, v52, v54, s[48:49]                  // 0000000066D8: D1000038 00C26D34
	v_cmp_u_f32_e64 s[48:49], v255, v255                       // 0000000066E0: D0480030 0003FFFF
	v_add3_u32 v52, v255, v55, 1                               // 0000000066E8: D1FF0034 02066FFF
	v_cndmask_b32_e64 v57, v52, v54, s[48:49]                  // 0000000066F0: D1000039 00C26D34
	v_perm_b32 v239, v57, v56, s52                             // 0000000066F8: D1ED00EF 00D27139
	s_cmp_ge_u32 s80, 0x200                                    // 000000006700: BF09FF50 00000200
	s_cselect_b32 s59, 0x200, s59                              // 000000006708: 853B3BFF 00000200
	s_mov_b64 exec, s[20:21]                                   // 000000006710: BEFE0114
	global_atomic_pk_add_bf16 v80, v64, s[8:9]                 // 000000006714: DD488000 00084050
	s_mov_b64 exec, s[36:37]                                   // 00000000671C: BEFE0124
	s_mov_b64 exec, s[20:21]                                   // 000000006720: BEFE0114
	global_atomic_pk_add_bf16 v80, v65, s[8:9] offset:256      // 000000006724: DD488100 00084150
	s_mov_b64 exec, s[36:37]                                   // 00000000672C: BEFE0124
	s_mov_b64 exec, s[22:23]                                   // 000000006730: BEFE0116
	global_atomic_pk_add_bf16 v82, v66, s[8:9]                 // 000000006734: DD488000 00084252
	s_mov_b64 exec, s[36:37]                                   // 00000000673C: BEFE0124
	s_mov_b64 exec, s[22:23]                                   // 000000006740: BEFE0116
	global_atomic_pk_add_bf16 v82, v67, s[8:9] offset:256      // 000000006744: DD488100 00084352
	s_mov_b64 exec, s[36:37]                                   // 00000000674C: BEFE0124
	s_mov_b64 exec, s[24:25]                                   // 000000006750: BEFE0118
	global_atomic_pk_add_bf16 v84, v68, s[8:9]                 // 000000006754: DD488000 00084454
	s_mov_b64 exec, s[36:37]                                   // 00000000675C: BEFE0124
	s_mov_b64 exec, s[24:25]                                   // 000000006760: BEFE0118
	global_atomic_pk_add_bf16 v84, v69, s[8:9] offset:256      // 000000006764: DD488100 00084554
	s_mov_b64 exec, s[36:37]                                   // 00000000676C: BEFE0124
	s_mov_b64 exec, s[26:27]                                   // 000000006770: BEFE011A
	global_atomic_pk_add_bf16 v86, v70, s[8:9]                 // 000000006774: DD488000 00084656
	s_mov_b64 exec, s[36:37]                                   // 00000000677C: BEFE0124
	s_mov_b64 exec, s[26:27]                                   // 000000006780: BEFE011A
	global_atomic_pk_add_bf16 v86, v71, s[8:9] offset:256      // 000000006784: DD488100 00084756
	s_mov_b64 exec, s[36:37]                                   // 00000000678C: BEFE0124
	s_mov_b64 exec, s[28:29]                                   // 000000006790: BEFE011C
	global_atomic_pk_add_bf16 v88, v72, s[8:9]                 // 000000006794: DD488000 00084858
	s_mov_b64 exec, s[36:37]                                   // 00000000679C: BEFE0124
	s_mov_b64 exec, s[28:29]                                   // 0000000067A0: BEFE011C
	global_atomic_pk_add_bf16 v88, v73, s[8:9] offset:256      // 0000000067A4: DD488100 00084958
	s_mov_b64 exec, s[36:37]                                   // 0000000067AC: BEFE0124
	s_mov_b64 exec, s[30:31]                                   // 0000000067B0: BEFE011E
	global_atomic_pk_add_bf16 v90, v74, s[8:9]                 // 0000000067B4: DD488000 00084A5A
	s_mov_b64 exec, s[36:37]                                   // 0000000067BC: BEFE0124
	s_mov_b64 exec, s[30:31]                                   // 0000000067C0: BEFE011E
	global_atomic_pk_add_bf16 v90, v75, s[8:9] offset:256      // 0000000067C4: DD488100 00084B5A
	s_mov_b64 exec, s[36:37]                                   // 0000000067CC: BEFE0124
	s_mov_b64 exec, s[32:33]                                   // 0000000067D0: BEFE0120
	global_atomic_pk_add_bf16 v92, v76, s[8:9]                 // 0000000067D4: DD488000 00084C5C
	s_mov_b64 exec, s[36:37]                                   // 0000000067DC: BEFE0124
	s_mov_b64 exec, s[32:33]                                   // 0000000067E0: BEFE0120
	global_atomic_pk_add_bf16 v92, v77, s[8:9] offset:256      // 0000000067E4: DD488100 00084D5C
	s_mov_b64 exec, s[36:37]                                   // 0000000067EC: BEFE0124
	s_mov_b64 exec, s[34:35]                                   // 0000000067F0: BEFE0122
	global_atomic_pk_add_bf16 v94, v78, s[8:9]                 // 0000000067F4: DD488000 00084E5E
	s_mov_b64 exec, s[36:37]                                   // 0000000067FC: BEFE0124
	s_mov_b64 exec, s[34:35]                                   // 000000006800: BEFE0122
	global_atomic_pk_add_bf16 v94, v79, s[8:9] offset:256      // 000000006804: DD488100 00084F5E
	s_mov_b64 exec, s[36:37]                                   // 00000000680C: BEFE0124
	s_add_u32 s8, s59, s8                                      // 000000006810: 8008083B
	s_addc_u32 s9, 0, s9                                       // 000000006814: 82090980
	s_addk_i32 s80, 0x100                                      // 000000006818: B7500100
	s_cmp_lt_i32 s80, s81                                      // 00000000681C: BF045150
	s_cbranch_scc0 label_0F4A                                  // 000000006820: BF840001
	s_branch label_0A31                                        // 000000006824: BF82FAE7

0000000000006828 <label_0F4A>:
	s_nop 0                                                    // 000000006828: BF800000
	s_nop 0                                                    // 00000000682C: BF800000
	s_branch label_1BF2                                        // 000000006830: BF820CA5

0000000000006834 <label_0F4D>:
	s_waitcnt vmcnt(8) lgkmcnt(0)                              // 000000006834: BF8C0078
	s_barrier                                                  // 000000006838: BF8A0000
	v_mfma_f32_16x16x32_fp8_fp8 v[160:163], a[0:1], v[192:193], 0// 00000000683C: D3F300A0 0A038100
	buffer_load_dwordx4 a[64:67], v44, s[92:95], 0 offen       // 000000006844: E05C1000 8097402C
	v_mfma_f32_16x16x32_fp8_fp8 v[160:163], a[2:3], v[194:195], v[160:163]// 00000000684C: D3F300A0 0E838502
	v_mfma_f32_16x16x32_fp8_fp8 v[160:163], a[4:5], v[196:197], v[160:163]// 000000006854: D3F300A0 0E838904
	buffer_load_dword v36, s[20:23], 0 offen lds               // 00000000685C: E0511000 80050024
	s_add_u32 m0, 0x100, s51                                   // 000000006864: 807C33FF 00000100
	v_mfma_f32_16x16x32_fp8_fp8 v[160:163], a[6:7], v[198:199], v[160:163]// 00000000686C: D3F300A0 0E838D06
	v_mfma_f32_16x16x32_fp8_fp8 v[164:167], a[0:1], v[208:209], 0// 000000006874: D3F300A4 0A03A100
	buffer_load_dwordx4 a[68:71], v44, s[92:95], 0 offen offset:1024// 00000000687C: E05C1400 8097442C
	v_mfma_f32_16x16x32_fp8_fp8 v[164:167], a[2:3], v[210:211], v[164:167]// 000000006884: D3F300A4 0E93A502
	v_mfma_f32_16x16x32_fp8_fp8 v[164:167], a[4:5], v[212:213], v[164:167]// 00000000688C: D3F300A4 0E93A904
	buffer_load_dword v37, s[20:23], 0 offen lds               // 000000006894: E0511000 80050025
	s_add_u32 m0, 0x200, s51                                   // 00000000689C: 807C33FF 00000200
	v_mfma_f32_16x16x32_fp8_fp8 v[164:167], a[6:7], v[214:215], v[164:167]// 0000000068A4: D3F300A4 0E93AD06
	v_mfma_f32_16x16x32_fp8_fp8 v[168:171], a[16:17], v[192:193], 0// 0000000068AC: D3F300A8 0A038110
	buffer_load_dwordx4 a[80:83], v45, s[92:95], 0 offen       // 0000000068B4: E05C1000 8097502D
	v_mfma_f32_16x16x32_fp8_fp8 v[168:171], a[18:19], v[194:195], v[168:171]// 0000000068BC: D3F300A8 0EA38512
	v_mfma_f32_16x16x32_fp8_fp8 v[168:171], a[20:21], v[196:197], v[168:171]// 0000000068C4: D3F300A8 0EA38914
	buffer_load_dword v38, s[20:23], 0 offen lds               // 0000000068CC: E0511000 80050026
	s_add_u32 m0, 0x300, s51                                   // 0000000068D4: 807C33FF 00000300
	v_mfma_f32_16x16x32_fp8_fp8 v[168:171], a[22:23], v[198:199], v[168:171]// 0000000068DC: D3F300A8 0EA38D16
	v_mfma_f32_16x16x32_fp8_fp8 v[172:175], a[16:17], v[208:209], 0// 0000000068E4: D3F300AC 0A03A110
	buffer_load_dwordx4 a[84:87], v45, s[92:95], 0 offen offset:1024// 0000000068EC: E05C1400 8097542D
	v_mfma_f32_16x16x32_fp8_fp8 v[172:175], a[18:19], v[210:211], v[172:175]// 0000000068F4: D3F300AC 0EB3A512
	v_mfma_f32_16x16x32_fp8_fp8 v[172:175], a[20:21], v[212:213], v[172:175]// 0000000068FC: D3F300AC 0EB3A914
	buffer_load_dword v39, s[20:23], 0 offen lds               // 000000006904: E0511000 80050027
	s_add_u32 m0, 0x400, s51                                   // 00000000690C: 807C33FF 00000400
	v_mfma_f32_16x16x32_fp8_fp8 v[172:175], a[22:23], v[214:215], v[172:175]// 000000006914: D3F300AC 0EB3AD16
	v_mfma_f32_16x16x32_fp8_fp8 v[176:179], a[32:33], v[192:193], 0// 00000000691C: D3F300B0 0A038120
	buffer_load_dwordx4 a[96:99], v46, s[92:95], 0 offen       // 000000006924: E05C1000 8097602E
	v_mfma_f32_16x16x32_fp8_fp8 v[176:179], a[34:35], v[194:195], v[176:179]// 00000000692C: D3F300B0 0EC38522
	v_mfma_f32_16x16x32_fp8_fp8 v[176:179], a[36:37], v[196:197], v[176:179]// 000000006934: D3F300B0 0EC38924
	buffer_load_dword v40, s[20:23], 0 offen lds               // 00000000693C: E0511000 80050028
	s_add_u32 m0, 0x500, s51                                   // 000000006944: 807C33FF 00000500
	v_mfma_f32_16x16x32_fp8_fp8 v[176:179], a[38:39], v[198:199], v[176:179]// 00000000694C: D3F300B0 0EC38D26
	v_mfma_f32_16x16x32_fp8_fp8 v[180:183], a[32:33], v[208:209], 0// 000000006954: D3F300B4 0A03A120
	buffer_load_dwordx4 a[100:103], v46, s[92:95], 0 offen offset:1024// 00000000695C: E05C1400 8097642E
	v_mfma_f32_16x16x32_fp8_fp8 v[180:183], a[34:35], v[210:211], v[180:183]// 000000006964: D3F300B4 0ED3A522
	v_mfma_f32_16x16x32_fp8_fp8 v[180:183], a[36:37], v[212:213], v[180:183]// 00000000696C: D3F300B4 0ED3A924
	buffer_load_dword v41, s[20:23], 0 offen lds               // 000000006974: E0511000 80050029
	s_add_u32 m0, 0x600, s51                                   // 00000000697C: 807C33FF 00000600
	v_mfma_f32_16x16x32_fp8_fp8 v[180:183], a[38:39], v[214:215], v[180:183]// 000000006984: D3F300B4 0ED3AD26
	v_mfma_f32_16x16x32_fp8_fp8 v[184:187], a[48:49], v[192:193], 0// 00000000698C: D3F300B8 0A038130
	buffer_load_dwordx4 a[112:115], v47, s[92:95], 0 offen     // 000000006994: E05C1000 8097702F
	v_mfma_f32_16x16x32_fp8_fp8 v[184:187], a[50:51], v[194:195], v[184:187]// 00000000699C: D3F300B8 0EE38532
	v_mfma_f32_16x16x32_fp8_fp8 v[184:187], a[52:53], v[196:197], v[184:187]// 0000000069A4: D3F300B8 0EE38934
	buffer_load_dword v42, s[20:23], 0 offen lds               // 0000000069AC: E0511000 8005002A
	s_add_u32 m0, 0x700, s51                                   // 0000000069B4: 807C33FF 00000700
	v_mfma_f32_16x16x32_fp8_fp8 v[184:187], a[54:55], v[198:199], v[184:187]// 0000000069BC: D3F300B8 0EE38D36
	v_mfma_f32_16x16x32_fp8_fp8 v[188:191], a[48:49], v[208:209], 0// 0000000069C4: D3F300BC 0A03A130
	buffer_load_dwordx4 a[116:119], v47, s[92:95], 0 offen offset:1024// 0000000069CC: E05C1400 8097742F
	v_mfma_f32_16x16x32_fp8_fp8 v[188:191], a[50:51], v[210:211], v[188:191]// 0000000069D4: D3F300BC 0EF3A532
	v_mfma_f32_16x16x32_fp8_fp8 v[188:191], a[52:53], v[212:213], v[188:191]// 0000000069DC: D3F300BC 0EF3A934
	buffer_load_dword v43, s[20:23], 0 offen lds               // 0000000069E4: E0511000 8005002B
	s_add_u32 m0, s51, s76                                     // 0000000069EC: 807C4C33
	v_mfma_f32_16x16x32_fp8_fp8 v[188:191], a[54:55], v[214:215], v[188:191]// 0000000069F0: D3F300BC 0EF3AD36
	buffer_load_dword v7, s[28:31], 0 offen lds                // 0000000069F8: E0511000 80070007
	s_add_u32 m0, 0, s50                                       // 000000006A00: 807C3280
	buffer_load_dword v24, v13, s[32:35], 0 offen              // 000000006A04: E0501000 8008180D
	v_mul_f32_dpp v56, v23, v15 row_newbcast:0 row_mask:0xf bank_mask:0xf// 000000006A0C: 0A701EFA FF015017
	v_mov_b32_e32 v57, v56                                     // 000000006A14: 7E720338
	v_pk_fma_f32 v[128:129], v[160:161], v[56:57], v[128:129]  // 000000006A18: D3B04080 1E0271A0
	v_pk_fma_f32 v[130:131], v[162:163], v[56:57], v[130:131]  // 000000006A20: D3B04082 1E0A71A2
	v_pk_fma_f32 v[136:137], v[168:169], v[56:57], v[136:137]  // 000000006A28: D3B04088 1E2271A8
	v_pk_fma_f32 v[138:139], v[170:171], v[56:57], v[138:139]  // 000000006A30: D3B0408A 1E2A71AA
	v_mul_f32_dpp v56, v23, v15 row_newbcast:1 row_mask:0xf bank_mask:0xf// 000000006A38: 0A701EFA FF015117
	v_mov_b32_e32 v57, v56                                     // 000000006A40: 7E720338
	v_pk_fma_f32 v[144:145], v[176:177], v[56:57], v[144:145]  // 000000006A44: D3B04090 1E4271B0
	v_pk_fma_f32 v[146:147], v[178:179], v[56:57], v[146:147]  // 000000006A4C: D3B04092 1E4A71B2
	v_pk_fma_f32 v[152:153], v[184:185], v[56:57], v[152:153]  // 000000006A54: D3B04098 1E6271B8
	v_pk_fma_f32 v[154:155], v[186:187], v[56:57], v[154:155]  // 000000006A5C: D3B0409A 1E6A71BA
	v_mul_f32_dpp v56, v23, v16 row_newbcast:0 row_mask:0xf bank_mask:0xf// 000000006A64: 0A7020FA FF015017
	v_mov_b32_e32 v57, v56                                     // 000000006A6C: 7E720338
	v_pk_fma_f32 v[132:133], v[164:165], v[56:57], v[132:133]  // 000000006A70: D3B04084 1E1271A4
	v_pk_fma_f32 v[134:135], v[166:167], v[56:57], v[134:135]  // 000000006A78: D3B04086 1E1A71A6
	v_pk_fma_f32 v[140:141], v[172:173], v[56:57], v[140:141]  // 000000006A80: D3B0408C 1E3271AC
	v_pk_fma_f32 v[142:143], v[174:175], v[56:57], v[142:143]  // 000000006A88: D3B0408E 1E3A71AE
	v_mul_f32_dpp v56, v23, v16 row_newbcast:1 row_mask:0xf bank_mask:0xf// 000000006A90: 0A7020FA FF015117
	v_mov_b32_e32 v57, v56                                     // 000000006A98: 7E720338
	v_pk_fma_f32 v[148:149], v[180:181], v[56:57], v[148:149]  // 000000006A9C: D3B04094 1E5271B4
	v_pk_fma_f32 v[150:151], v[182:183], v[56:57], v[150:151]  // 000000006AA4: D3B04096 1E5A71B6
	v_pk_fma_f32 v[156:157], v[188:189], v[56:57], v[156:157]  // 000000006AAC: D3B0409C 1E7271BC
	v_pk_fma_f32 v[158:159], v[190:191], v[56:57], v[158:159]  // 000000006AB4: D3B0409E 1E7A71BE
	s_waitcnt vmcnt(22)                                        // 000000006ABC: BF8C4F76
	v_mfma_f32_16x16x32_fp8_fp8 v[160:163], a[8:9], v[200:201], 0// 000000006AC0: D3F300A0 0A039108
	buffer_load_dwordx4 a[72:75], v44, s[92:95], 0 offen offset:2048// 000000006AC8: E05C1800 8097482C
	v_mfma_f32_16x16x32_fp8_fp8 v[160:163], a[10:11], v[202:203], v[160:163]// 000000006AD0: D3F300A0 0E83950A
	v_mfma_f32_16x16x32_fp8_fp8 v[160:163], a[12:13], v[204:205], v[160:163]// 000000006AD8: D3F300A0 0E83990C
	v_mfma_f32_16x16x32_fp8_fp8 v[160:163], a[14:15], v[206:207], v[160:163]// 000000006AE0: D3F300A0 0E839D0E
	v_mfma_f32_16x16x32_fp8_fp8 v[164:167], a[8:9], v[216:217], 0// 000000006AE8: D3F300A4 0A03B108
	buffer_load_dwordx4 a[76:79], v44, s[92:95], 0 offen offset:3072// 000000006AF0: E05C1C00 80974C2C
	v_mfma_f32_16x16x32_fp8_fp8 v[164:167], a[10:11], v[218:219], v[164:167]// 000000006AF8: D3F300A4 0E93B50A
	v_mfma_f32_16x16x32_fp8_fp8 v[164:167], a[12:13], v[220:221], v[164:167]// 000000006B00: D3F300A4 0E93B90C
	v_mfma_f32_16x16x32_fp8_fp8 v[164:167], a[14:15], v[222:223], v[164:167]// 000000006B08: D3F300A4 0E93BD0E
	v_mfma_f32_16x16x32_fp8_fp8 v[168:171], a[24:25], v[200:201], 0// 000000006B10: D3F300A8 0A039118
	buffer_load_dwordx4 a[88:91], v45, s[92:95], 0 offen offset:2048// 000000006B18: E05C1800 8097582D
	v_mfma_f32_16x16x32_fp8_fp8 v[168:171], a[26:27], v[202:203], v[168:171]// 000000006B20: D3F300A8 0EA3951A
	v_mfma_f32_16x16x32_fp8_fp8 v[168:171], a[28:29], v[204:205], v[168:171]// 000000006B28: D3F300A8 0EA3991C
	v_mfma_f32_16x16x32_fp8_fp8 v[168:171], a[30:31], v[206:207], v[168:171]// 000000006B30: D3F300A8 0EA39D1E
	v_mfma_f32_16x16x32_fp8_fp8 v[172:175], a[24:25], v[216:217], 0// 000000006B38: D3F300AC 0A03B118
	buffer_load_dwordx4 a[92:95], v45, s[92:95], 0 offen offset:3072// 000000006B40: E05C1C00 80975C2D
	v_mfma_f32_16x16x32_fp8_fp8 v[172:175], a[26:27], v[218:219], v[172:175]// 000000006B48: D3F300AC 0EB3B51A
	v_mfma_f32_16x16x32_fp8_fp8 v[172:175], a[28:29], v[220:221], v[172:175]// 000000006B50: D3F300AC 0EB3B91C
	v_mfma_f32_16x16x32_fp8_fp8 v[172:175], a[30:31], v[222:223], v[172:175]// 000000006B58: D3F300AC 0EB3BD1E
	s_waitcnt vmcnt(22)                                        // 000000006B60: BF8C4F76
	v_mfma_f32_16x16x32_fp8_fp8 v[176:179], a[40:41], v[200:201], 0// 000000006B64: D3F300B0 0A039128
	buffer_load_dwordx4 a[104:107], v46, s[92:95], 0 offen offset:2048// 000000006B6C: E05C1800 8097682E
	v_mfma_f32_16x16x32_fp8_fp8 v[176:179], a[42:43], v[202:203], v[176:179]// 000000006B74: D3F300B0 0EC3952A
	v_mfma_f32_16x16x32_fp8_fp8 v[176:179], a[44:45], v[204:205], v[176:179]// 000000006B7C: D3F300B0 0EC3992C
	v_mfma_f32_16x16x32_fp8_fp8 v[176:179], a[46:47], v[206:207], v[176:179]// 000000006B84: D3F300B0 0EC39D2E
	v_mfma_f32_16x16x32_fp8_fp8 v[180:183], a[40:41], v[216:217], 0// 000000006B8C: D3F300B4 0A03B128
	buffer_load_dwordx4 a[108:111], v46, s[92:95], 0 offen offset:3072// 000000006B94: E05C1C00 80976C2E
	v_mfma_f32_16x16x32_fp8_fp8 v[180:183], a[42:43], v[218:219], v[180:183]// 000000006B9C: D3F300B4 0ED3B52A
	v_mfma_f32_16x16x32_fp8_fp8 v[180:183], a[44:45], v[220:221], v[180:183]// 000000006BA4: D3F300B4 0ED3B92C
	v_mfma_f32_16x16x32_fp8_fp8 v[180:183], a[46:47], v[222:223], v[180:183]// 000000006BAC: D3F300B4 0ED3BD2E
	v_mfma_f32_16x16x32_fp8_fp8 v[184:187], a[56:57], v[200:201], 0// 000000006BB4: D3F300B8 0A039138
	buffer_load_dwordx4 a[120:123], v47, s[92:95], 0 offen offset:2048// 000000006BBC: E05C1800 8097782F
	v_mfma_f32_16x16x32_fp8_fp8 v[184:187], a[58:59], v[202:203], v[184:187]// 000000006BC4: D3F300B8 0EE3953A
	v_mfma_f32_16x16x32_fp8_fp8 v[184:187], a[60:61], v[204:205], v[184:187]// 000000006BCC: D3F300B8 0EE3993C
	v_mfma_f32_16x16x32_fp8_fp8 v[184:187], a[62:63], v[206:207], v[184:187]// 000000006BD4: D3F300B8 0EE39D3E
	v_mfma_f32_16x16x32_fp8_fp8 v[188:191], a[56:57], v[216:217], 0// 000000006BDC: D3F300BC 0A03B138
	buffer_load_dwordx4 a[124:127], v47, s[92:95], 0 offen offset:3072// 000000006BE4: E05C1C00 80977C2F
	v_mfma_f32_16x16x32_fp8_fp8 v[188:191], a[58:59], v[218:219], v[188:191]// 000000006BEC: D3F300BC 0EF3B53A
	v_mfma_f32_16x16x32_fp8_fp8 v[188:191], a[60:61], v[220:221], v[188:191]// 000000006BF4: D3F300BC 0EF3B93C
	v_mfma_f32_16x16x32_fp8_fp8 v[188:191], a[62:63], v[222:223], v[188:191]// 000000006BFC: D3F300BC 0EF3BD3E
	v_mul_f32_dpp v56, v23, v17 row_newbcast:2 row_mask:0xf bank_mask:0xf// 000000006C04: 0A7022FA FF015217
	v_mov_b32_e32 v57, v56                                     // 000000006C0C: 7E720338
	v_pk_fma_f32 v[128:129], v[160:161], v[56:57], v[128:129]  // 000000006C10: D3B04080 1E0271A0
	v_pk_fma_f32 v[130:131], v[162:163], v[56:57], v[130:131]  // 000000006C18: D3B04082 1E0A71A2
	v_pk_fma_f32 v[136:137], v[168:169], v[56:57], v[136:137]  // 000000006C20: D3B04088 1E2271A8
	v_pk_fma_f32 v[138:139], v[170:171], v[56:57], v[138:139]  // 000000006C28: D3B0408A 1E2A71AA
	v_mul_f32_dpp v56, v23, v17 row_newbcast:3 row_mask:0xf bank_mask:0xf// 000000006C30: 0A7022FA FF015317
	v_mov_b32_e32 v57, v56                                     // 000000006C38: 7E720338
	v_pk_fma_f32 v[144:145], v[176:177], v[56:57], v[144:145]  // 000000006C3C: D3B04090 1E4271B0
	v_pk_fma_f32 v[146:147], v[178:179], v[56:57], v[146:147]  // 000000006C44: D3B04092 1E4A71B2
	v_pk_fma_f32 v[152:153], v[184:185], v[56:57], v[152:153]  // 000000006C4C: D3B04098 1E6271B8
	v_pk_fma_f32 v[154:155], v[186:187], v[56:57], v[154:155]  // 000000006C54: D3B0409A 1E6A71BA
	v_mul_f32_dpp v56, v23, v18 row_newbcast:2 row_mask:0xf bank_mask:0xf// 000000006C5C: 0A7024FA FF015217
	v_mov_b32_e32 v57, v56                                     // 000000006C64: 7E720338
	v_pk_fma_f32 v[132:133], v[164:165], v[56:57], v[132:133]  // 000000006C68: D3B04084 1E1271A4
	v_pk_fma_f32 v[134:135], v[166:167], v[56:57], v[134:135]  // 000000006C70: D3B04086 1E1A71A6
	v_pk_fma_f32 v[140:141], v[172:173], v[56:57], v[140:141]  // 000000006C78: D3B0408C 1E3271AC
	v_pk_fma_f32 v[142:143], v[174:175], v[56:57], v[142:143]  // 000000006C80: D3B0408E 1E3A71AE
	v_mul_f32_dpp v56, v23, v18 row_newbcast:3 row_mask:0xf bank_mask:0xf// 000000006C88: 0A7024FA FF015317
	v_mov_b32_e32 v57, v56                                     // 000000006C90: 7E720338
	v_pk_fma_f32 v[148:149], v[180:181], v[56:57], v[148:149]  // 000000006C94: D3B04094 1E5271B4
	v_pk_fma_f32 v[150:151], v[182:183], v[56:57], v[150:151]  // 000000006C9C: D3B04096 1E5A71B6
	v_pk_fma_f32 v[156:157], v[188:189], v[56:57], v[156:157]  // 000000006CA4: D3B0409C 1E7271BC
	v_pk_fma_f32 v[158:159], v[190:191], v[56:57], v[158:159]  // 000000006CAC: D3B0409E 1E7A71BE
	s_add_u32 s60, 0x100, s80                                  // 000000006CB4: 803C50FF 00000100
	s_cmp_lt_u32 s60, s81                                      // 000000006CBC: BF0A513C
	s_cselect_b32 s4, s4, 0                                    // 000000006CC0: 85048004
	s_add_u32 s32, s4, s32                                     // 000000006CC4: 80202004
	s_addc_u32 s33, 0, s33                                     // 000000006CC8: 82212180
	s_waitcnt vmcnt(8)                                         // 000000006CCC: BF8C0F78
	s_barrier                                                  // 000000006CD0: BF8A0000
	v_mfma_f32_16x16x32_fp8_fp8 v[96:99], a[64:65], v[192:193], 0// 000000006CD4: D3F30060 0A038140
	buffer_load_dwordx4 a[0:3], v44, s[24:27], 0 offen         // 000000006CDC: E05C1000 8086002C
	v_mfma_f32_16x16x32_fp8_fp8 v[96:99], a[66:67], v[194:195], v[96:99]// 000000006CE4: D3F30060 0D838542
	v_mfma_f32_16x16x32_fp8_fp8 v[96:99], a[68:69], v[196:197], v[96:99]// 000000006CEC: D3F30060 0D838944
	buffer_load_dword v23, v11, s[32:35], 0 offen              // 000000006CF4: E0501000 8008170B
	v_mfma_f32_16x16x32_fp8_fp8 v[96:99], a[70:71], v[198:199], v[96:99]// 000000006CFC: D3F30060 0D838D46
	v_mfma_f32_16x16x32_fp8_fp8 v[100:103], a[64:65], v[208:209], 0// 000000006D04: D3F30064 0A03A140
	buffer_load_dwordx4 a[4:7], v44, s[24:27], 0 offen offset:1024// 000000006D0C: E05C1400 8086042C
	v_mfma_f32_16x16x32_fp8_fp8 v[100:103], a[66:67], v[210:211], v[100:103]// 000000006D14: D3F30064 0D93A542
	v_mfma_f32_16x16x32_fp8_fp8 v[100:103], a[68:69], v[212:213], v[100:103]// 000000006D1C: D3F30064 0D93A944
	v_mfma_f32_16x16x32_fp8_fp8 v[100:103], a[70:71], v[214:215], v[100:103]// 000000006D24: D3F30064 0D93AD46
	v_mfma_f32_16x16x32_fp8_fp8 v[104:107], a[80:81], v[192:193], 0// 000000006D2C: D3F30068 0A038150
	buffer_load_dwordx4 a[16:19], v45, s[24:27], 0 offen       // 000000006D34: E05C1000 8086102D
	v_mfma_f32_16x16x32_fp8_fp8 v[104:107], a[82:83], v[194:195], v[104:107]// 000000006D3C: D3F30068 0DA38552
	v_mfma_f32_16x16x32_fp8_fp8 v[104:107], a[84:85], v[196:197], v[104:107]// 000000006D44: D3F30068 0DA38954
	v_mfma_f32_16x16x32_fp8_fp8 v[104:107], a[86:87], v[198:199], v[104:107]// 000000006D4C: D3F30068 0DA38D56
	v_mfma_f32_16x16x32_fp8_fp8 v[108:111], a[80:81], v[208:209], 0// 000000006D54: D3F3006C 0A03A150
	buffer_load_dwordx4 a[20:23], v45, s[24:27], 0 offen offset:1024// 000000006D5C: E05C1400 8086142D
	v_mfma_f32_16x16x32_fp8_fp8 v[108:111], a[82:83], v[210:211], v[108:111]// 000000006D64: D3F3006C 0DB3A552
	v_mfma_f32_16x16x32_fp8_fp8 v[108:111], a[84:85], v[212:213], v[108:111]// 000000006D6C: D3F3006C 0DB3A954
	v_mfma_f32_16x16x32_fp8_fp8 v[108:111], a[86:87], v[214:215], v[108:111]// 000000006D74: D3F3006C 0DB3AD56
	v_mfma_f32_16x16x32_fp8_fp8 v[112:115], a[96:97], v[192:193], 0// 000000006D7C: D3F30070 0A038160
	buffer_load_dwordx4 a[32:35], v46, s[24:27], 0 offen       // 000000006D84: E05C1000 8086202E
	v_mfma_f32_16x16x32_fp8_fp8 v[112:115], a[98:99], v[194:195], v[112:115]// 000000006D8C: D3F30070 0DC38562
	v_mfma_f32_16x16x32_fp8_fp8 v[112:115], a[100:101], v[196:197], v[112:115]// 000000006D94: D3F30070 0DC38964
	v_mfma_f32_16x16x32_fp8_fp8 v[112:115], a[102:103], v[198:199], v[112:115]// 000000006D9C: D3F30070 0DC38D66
	v_mfma_f32_16x16x32_fp8_fp8 v[116:119], a[96:97], v[208:209], 0// 000000006DA4: D3F30074 0A03A160
	buffer_load_dwordx4 a[36:39], v46, s[24:27], 0 offen offset:1024// 000000006DAC: E05C1400 8086242E
	v_mfma_f32_16x16x32_fp8_fp8 v[116:119], a[98:99], v[210:211], v[116:119]// 000000006DB4: D3F30074 0DD3A562
	v_mfma_f32_16x16x32_fp8_fp8 v[116:119], a[100:101], v[212:213], v[116:119]// 000000006DBC: D3F30074 0DD3A964
	v_mfma_f32_16x16x32_fp8_fp8 v[116:119], a[102:103], v[214:215], v[116:119]// 000000006DC4: D3F30074 0DD3AD66
	v_mfma_f32_16x16x32_fp8_fp8 v[120:123], a[112:113], v[192:193], 0// 000000006DCC: D3F30078 0A038170
	buffer_load_dwordx4 a[48:51], v47, s[24:27], 0 offen       // 000000006DD4: E05C1000 8086302F
	v_mfma_f32_16x16x32_fp8_fp8 v[120:123], a[114:115], v[194:195], v[120:123]// 000000006DDC: D3F30078 0DE38572
	v_mfma_f32_16x16x32_fp8_fp8 v[120:123], a[116:117], v[196:197], v[120:123]// 000000006DE4: D3F30078 0DE38974
	v_mfma_f32_16x16x32_fp8_fp8 v[120:123], a[118:119], v[198:199], v[120:123]// 000000006DEC: D3F30078 0DE38D76
	v_mfma_f32_16x16x32_fp8_fp8 v[124:127], a[112:113], v[208:209], 0// 000000006DF4: D3F3007C 0A03A170
	buffer_load_dwordx4 a[52:55], v47, s[24:27], 0 offen offset:1024// 000000006DFC: E05C1400 8086342F
	v_mfma_f32_16x16x32_fp8_fp8 v[124:127], a[114:115], v[210:211], v[124:127]// 000000006E04: D3F3007C 0DF3A572
	v_mfma_f32_16x16x32_fp8_fp8 v[124:127], a[116:117], v[212:213], v[124:127]// 000000006E0C: D3F3007C 0DF3A974
	v_mfma_f32_16x16x32_fp8_fp8 v[124:127], a[118:119], v[214:215], v[124:127]// 000000006E14: D3F3007C 0DF3AD76
	v_mul_f32_dpp v56, v24, v15 row_newbcast:0 row_mask:0xf bank_mask:0xf// 000000006E1C: 0A701EFA FF015018
	v_mov_b32_e32 v57, v56                                     // 000000006E24: 7E720338
	v_pk_fma_f32 v[64:65], v[96:97], v[56:57], v[64:65]        // 000000006E28: D3B04040 1D027160
	v_pk_fma_f32 v[66:67], v[98:99], v[56:57], v[66:67]        // 000000006E30: D3B04042 1D0A7162
	v_pk_fma_f32 v[72:73], v[104:105], v[56:57], v[72:73]      // 000000006E38: D3B04048 1D227168
	v_pk_fma_f32 v[74:75], v[106:107], v[56:57], v[74:75]      // 000000006E40: D3B0404A 1D2A716A
	v_mul_f32_dpp v56, v24, v15 row_newbcast:1 row_mask:0xf bank_mask:0xf// 000000006E48: 0A701EFA FF015118
	v_mov_b32_e32 v57, v56                                     // 000000006E50: 7E720338
	v_pk_fma_f32 v[80:81], v[112:113], v[56:57], v[80:81]      // 000000006E54: D3B04050 1D427170
	v_pk_fma_f32 v[82:83], v[114:115], v[56:57], v[82:83]      // 000000006E5C: D3B04052 1D4A7172
	v_pk_fma_f32 v[88:89], v[120:121], v[56:57], v[88:89]      // 000000006E64: D3B04058 1D627178
	v_pk_fma_f32 v[90:91], v[122:123], v[56:57], v[90:91]      // 000000006E6C: D3B0405A 1D6A717A
	v_mul_f32_dpp v56, v24, v16 row_newbcast:0 row_mask:0xf bank_mask:0xf// 000000006E74: 0A7020FA FF015018
	v_mov_b32_e32 v57, v56                                     // 000000006E7C: 7E720338
	v_pk_fma_f32 v[68:69], v[100:101], v[56:57], v[68:69]      // 000000006E80: D3B04044 1D127164
	v_pk_fma_f32 v[70:71], v[102:103], v[56:57], v[70:71]      // 000000006E88: D3B04046 1D1A7166
	v_pk_fma_f32 v[76:77], v[108:109], v[56:57], v[76:77]      // 000000006E90: D3B0404C 1D32716C
	v_pk_fma_f32 v[78:79], v[110:111], v[56:57], v[78:79]      // 000000006E98: D3B0404E 1D3A716E
	v_mul_f32_dpp v56, v24, v16 row_newbcast:1 row_mask:0xf bank_mask:0xf// 000000006EA0: 0A7020FA FF015118
	v_mov_b32_e32 v57, v56                                     // 000000006EA8: 7E720338
	v_pk_fma_f32 v[84:85], v[116:117], v[56:57], v[84:85]      // 000000006EAC: D3B04054 1D527174
	v_pk_fma_f32 v[86:87], v[118:119], v[56:57], v[86:87]      // 000000006EB4: D3B04056 1D5A7176
	v_pk_fma_f32 v[92:93], v[124:125], v[56:57], v[92:93]      // 000000006EBC: D3B0405C 1D72717C
	v_pk_fma_f32 v[94:95], v[126:127], v[56:57], v[94:95]      // 000000006EC4: D3B0405E 1D7A717E
	s_waitcnt vmcnt(13)                                        // 000000006ECC: BF8C0F7D
	v_mfma_f32_16x16x32_fp8_fp8 v[96:99], a[72:73], v[200:201], 0// 000000006ED0: D3F30060 0A039148
	buffer_load_dwordx4 a[8:11], v44, s[24:27], 0 offen offset:2048// 000000006ED8: E05C1800 8086082C
	v_mfma_f32_16x16x32_fp8_fp8 v[96:99], a[74:75], v[202:203], v[96:99]// 000000006EE0: D3F30060 0D83954A
	v_mfma_f32_16x16x32_fp8_fp8 v[96:99], a[76:77], v[204:205], v[96:99]// 000000006EE8: D3F30060 0D83994C
	ds_read_b128 v[224:227], v2 offset:9344                    // 000000006EF0: D9FE2480 E0000002
	ds_read_b32 v19, v3 offset:17664                           // 000000006EF8: D86C4500 13000003
	v_mfma_f32_16x16x32_fp8_fp8 v[96:99], a[78:79], v[206:207], v[96:99]// 000000006F00: D3F30060 0D839D4E
	v_mfma_f32_16x16x32_fp8_fp8 v[100:103], a[72:73], v[216:217], 0// 000000006F08: D3F30064 0A03B148
	buffer_load_dwordx4 a[12:15], v44, s[24:27], 0 offen offset:3072// 000000006F10: E05C1C00 80860C2C
	v_mfma_f32_16x16x32_fp8_fp8 v[100:103], a[74:75], v[218:219], v[100:103]// 000000006F18: D3F30064 0D93B54A
	v_mfma_f32_16x16x32_fp8_fp8 v[100:103], a[76:77], v[220:221], v[100:103]// 000000006F20: D3F30064 0D93B94C
	ds_read_b128 v[228:231], v2 offset:9408                    // 000000006F28: D9FE24C0 E4000002
	ds_read_b32 v20, v3 offset:17920                           // 000000006F30: D86C4600 14000003
	v_mfma_f32_16x16x32_fp8_fp8 v[100:103], a[78:79], v[222:223], v[100:103]// 000000006F38: D3F30064 0D93BD4E
	v_mfma_f32_16x16x32_fp8_fp8 v[104:107], a[88:89], v[200:201], 0// 000000006F40: D3F30068 0A039158
	buffer_load_dwordx4 a[24:27], v45, s[24:27], 0 offen offset:2048// 000000006F48: E05C1800 8086182D
	v_mfma_f32_16x16x32_fp8_fp8 v[104:107], a[90:91], v[202:203], v[104:107]// 000000006F50: D3F30068 0DA3955A
	v_mfma_f32_16x16x32_fp8_fp8 v[104:107], a[92:93], v[204:205], v[104:107]// 000000006F58: D3F30068 0DA3995C
	ds_read_b128 v[232:235], v2 offset:9472                    // 000000006F60: D9FE2500 E8000002
	ds_read_b32 v21, v3 offset:18176                           // 000000006F68: D86C4700 15000003
	v_mfma_f32_16x16x32_fp8_fp8 v[104:107], a[94:95], v[206:207], v[104:107]// 000000006F70: D3F30068 0DA39D5E
	v_mfma_f32_16x16x32_fp8_fp8 v[108:111], a[88:89], v[216:217], 0// 000000006F78: D3F3006C 0A03B158
	buffer_load_dwordx4 a[28:31], v45, s[24:27], 0 offen offset:3072// 000000006F80: E05C1C00 80861C2D
	v_mfma_f32_16x16x32_fp8_fp8 v[108:111], a[90:91], v[218:219], v[108:111]// 000000006F88: D3F3006C 0DB3B55A
	v_mfma_f32_16x16x32_fp8_fp8 v[108:111], a[92:93], v[220:221], v[108:111]// 000000006F90: D3F3006C 0DB3B95C
	ds_read_b128 v[236:239], v2 offset:9536                    // 000000006F98: D9FE2540 EC000002
	ds_read_b32 v22, v3 offset:18432                           // 000000006FA0: D86C4800 16000003
	v_mfma_f32_16x16x32_fp8_fp8 v[108:111], a[94:95], v[222:223], v[108:111]// 000000006FA8: D3F3006C 0DB3BD5E
	s_waitcnt vmcnt(13)                                        // 000000006FB0: BF8C0F7D
	v_mfma_f32_16x16x32_fp8_fp8 v[112:115], a[104:105], v[200:201], 0// 000000006FB4: D3F30070 0A039168
	buffer_load_dwordx4 a[40:43], v46, s[24:27], 0 offen offset:2048// 000000006FBC: E05C1800 8086282E
	v_mfma_f32_16x16x32_fp8_fp8 v[112:115], a[106:107], v[202:203], v[112:115]// 000000006FC4: D3F30070 0DC3956A
	v_mfma_f32_16x16x32_fp8_fp8 v[112:115], a[108:109], v[204:205], v[112:115]// 000000006FCC: D3F30070 0DC3996C
	ds_read_b128 v[240:243], v2 offset:10368                   // 000000006FD4: D9FE2880 F0000002
	v_mfma_f32_16x16x32_fp8_fp8 v[112:115], a[110:111], v[206:207], v[112:115]// 000000006FDC: D3F30070 0DC39D6E
	v_mfma_f32_16x16x32_fp8_fp8 v[116:119], a[104:105], v[216:217], 0// 000000006FE4: D3F30074 0A03B168
	buffer_load_dwordx4 a[44:47], v46, s[24:27], 0 offen offset:3072// 000000006FEC: E05C1C00 80862C2E
	v_mfma_f32_16x16x32_fp8_fp8 v[116:119], a[106:107], v[218:219], v[116:119]// 000000006FF4: D3F30074 0DD3B56A
	v_mfma_f32_16x16x32_fp8_fp8 v[116:119], a[108:109], v[220:221], v[116:119]// 000000006FFC: D3F30074 0DD3B96C
	ds_read_b128 v[244:247], v2 offset:10432                   // 000000007004: D9FE28C0 F4000002
	v_mfma_f32_16x16x32_fp8_fp8 v[116:119], a[110:111], v[222:223], v[116:119]// 00000000700C: D3F30074 0DD3BD6E
	v_mfma_f32_16x16x32_fp8_fp8 v[120:123], a[120:121], v[200:201], 0// 000000007014: D3F30078 0A039178
	buffer_load_dwordx4 a[56:59], v47, s[24:27], 0 offen offset:2048// 00000000701C: E05C1800 8086382F
	v_mfma_f32_16x16x32_fp8_fp8 v[120:123], a[122:123], v[202:203], v[120:123]// 000000007024: D3F30078 0DE3957A
	v_mfma_f32_16x16x32_fp8_fp8 v[120:123], a[124:125], v[204:205], v[120:123]// 00000000702C: D3F30078 0DE3997C
	ds_read_b128 v[248:251], v2 offset:10496                   // 000000007034: D9FE2900 F8000002
	v_mfma_f32_16x16x32_fp8_fp8 v[120:123], a[126:127], v[206:207], v[120:123]// 00000000703C: D3F30078 0DE39D7E
	v_mfma_f32_16x16x32_fp8_fp8 v[124:127], a[120:121], v[216:217], 0// 000000007044: D3F3007C 0A03B178
	buffer_load_dwordx4 a[60:63], v47, s[24:27], 0 offen offset:3072// 00000000704C: E05C1C00 80863C2F
	v_mfma_f32_16x16x32_fp8_fp8 v[124:127], a[122:123], v[218:219], v[124:127]// 000000007054: D3F3007C 0DF3B57A
	v_mfma_f32_16x16x32_fp8_fp8 v[124:127], a[124:125], v[220:221], v[124:127]// 00000000705C: D3F3007C 0DF3B97C
	ds_read_b128 v[252:255], v2 offset:10560                   // 000000007064: D9FE2940 FC000002
	v_mfma_f32_16x16x32_fp8_fp8 v[124:127], a[126:127], v[222:223], v[124:127]// 00000000706C: D3F3007C 0DF3BD7E
	v_mul_f32_dpp v56, v24, v17 row_newbcast:2 row_mask:0xf bank_mask:0xf// 000000007074: 0A7022FA FF015218
	v_mov_b32_e32 v57, v56                                     // 00000000707C: 7E720338
	v_pk_fma_f32 v[64:65], v[96:97], v[56:57], v[64:65]        // 000000007080: D3B04040 1D027160
	v_pk_fma_f32 v[66:67], v[98:99], v[56:57], v[66:67]        // 000000007088: D3B04042 1D0A7162
	v_pk_fma_f32 v[72:73], v[104:105], v[56:57], v[72:73]      // 000000007090: D3B04048 1D227168
	v_pk_fma_f32 v[74:75], v[106:107], v[56:57], v[74:75]      // 000000007098: D3B0404A 1D2A716A
	v_mul_f32_dpp v56, v24, v17 row_newbcast:3 row_mask:0xf bank_mask:0xf// 0000000070A0: 0A7022FA FF015318
	v_mov_b32_e32 v57, v56                                     // 0000000070A8: 7E720338
	v_pk_fma_f32 v[80:81], v[112:113], v[56:57], v[80:81]      // 0000000070AC: D3B04050 1D427170
	v_pk_fma_f32 v[82:83], v[114:115], v[56:57], v[82:83]      // 0000000070B4: D3B04052 1D4A7172
	v_pk_fma_f32 v[88:89], v[120:121], v[56:57], v[88:89]      // 0000000070BC: D3B04058 1D627178
	v_pk_fma_f32 v[90:91], v[122:123], v[56:57], v[90:91]      // 0000000070C4: D3B0405A 1D6A717A
	v_mul_f32_dpp v56, v24, v18 row_newbcast:2 row_mask:0xf bank_mask:0xf// 0000000070CC: 0A7024FA FF015218
	v_mov_b32_e32 v57, v56                                     // 0000000070D4: 7E720338
	v_pk_fma_f32 v[68:69], v[100:101], v[56:57], v[68:69]      // 0000000070D8: D3B04044 1D127164
	v_pk_fma_f32 v[70:71], v[102:103], v[56:57], v[70:71]      // 0000000070E0: D3B04046 1D1A7166
	v_pk_fma_f32 v[76:77], v[108:109], v[56:57], v[76:77]      // 0000000070E8: D3B0404C 1D32716C
	v_pk_fma_f32 v[78:79], v[110:111], v[56:57], v[78:79]      // 0000000070F0: D3B0404E 1D3A716E
	v_mul_f32_dpp v56, v24, v18 row_newbcast:3 row_mask:0xf bank_mask:0xf// 0000000070F8: 0A7024FA FF015318
	v_mov_b32_e32 v57, v56                                     // 000000007100: 7E720338
	v_pk_fma_f32 v[84:85], v[116:117], v[56:57], v[84:85]      // 000000007104: D3B04054 1D527174
	v_pk_fma_f32 v[86:87], v[118:119], v[56:57], v[86:87]      // 00000000710C: D3B04056 1D5A7176
	v_pk_fma_f32 v[92:93], v[124:125], v[56:57], v[92:93]      // 000000007114: D3B0405C 1D72717C
	v_pk_fma_f32 v[94:95], v[126:127], v[56:57], v[94:95]      // 00000000711C: D3B0405E 1D7A717E
	s_add_u32 s60, 0x200, s80                                  // 000000007124: 803C50FF 00000200
	s_cmp_lt_u32 s60, s81                                      // 00000000712C: BF0A513C
	s_cselect_b32 s57, s57, 0                                  // 000000007130: 85398039
	s_cselect_b32 s3, s3, 0                                    // 000000007134: 85038003
	s_add_u32 s60, 0x200, s80                                  // 000000007138: 803C50FF 00000200
	s_cmp_lt_u32 s60, s81                                      // 000000007140: BF0A513C
	s_cselect_b32 s58, s58, 0                                  // 000000007144: 853A803A
	s_add_u32 s20, s57, s20                                    // 000000007148: 80141439
	s_addc_u32 s21, 0, s21                                     // 00000000714C: 82151580
	s_add_u32 s28, s3, s28                                     // 000000007150: 801C1C03
	s_addc_u32 s29, 0, s29                                     // 000000007154: 821D1D80
	s_add_u32 s24, s58, s24                                    // 000000007158: 8018183A
	s_addc_u32 s25, 0, s25                                     // 00000000715C: 82191980
	s_add_u32 s92, s90, s92                                    // 000000007160: 805C5C5A
	s_addc_u32 s93, 0, s93                                     // 000000007164: 825D5D80
	s_addk_i32 s80, 0x100                                      // 000000007168: B7500100
	s_cmp_lt_i32 s80, s81                                      // 00000000716C: BF045150
	s_cbranch_scc0 label_13EE                                  // 000000007170: BF840251
	s_waitcnt vmcnt(8) lgkmcnt(0)                              // 000000007174: BF8C0078
	s_barrier                                                  // 000000007178: BF8A0000
	v_mfma_f32_16x16x32_fp8_fp8 v[160:163], a[0:1], v[224:225], 0// 00000000717C: D3F300A0 0A03C100
	buffer_load_dwordx4 a[64:67], v44, s[92:95], 0 offen       // 000000007184: E05C1000 8097402C
	v_mfma_f32_16x16x32_fp8_fp8 v[160:163], a[2:3], v[226:227], v[160:163]// 00000000718C: D3F300A0 0E83C502
	v_mfma_f32_16x16x32_fp8_fp8 v[160:163], a[4:5], v[228:229], v[160:163]// 000000007194: D3F300A0 0E83C904
	buffer_load_dword v36, s[20:23], 0 offen lds               // 00000000719C: E0511000 80050024
	s_add_u32 m0, 0x100, s50                                   // 0000000071A4: 807C32FF 00000100
	v_mfma_f32_16x16x32_fp8_fp8 v[160:163], a[6:7], v[230:231], v[160:163]// 0000000071AC: D3F300A0 0E83CD06
	v_mfma_f32_16x16x32_fp8_fp8 v[164:167], a[0:1], v[240:241], 0// 0000000071B4: D3F300A4 0A03E100
	buffer_load_dwordx4 a[68:71], v44, s[92:95], 0 offen offset:1024// 0000000071BC: E05C1400 8097442C
	v_mfma_f32_16x16x32_fp8_fp8 v[164:167], a[2:3], v[242:243], v[164:167]// 0000000071C4: D3F300A4 0E93E502
	v_mfma_f32_16x16x32_fp8_fp8 v[164:167], a[4:5], v[244:245], v[164:167]// 0000000071CC: D3F300A4 0E93E904
	buffer_load_dword v37, s[20:23], 0 offen lds               // 0000000071D4: E0511000 80050025
	s_add_u32 m0, 0x200, s50                                   // 0000000071DC: 807C32FF 00000200
	v_mfma_f32_16x16x32_fp8_fp8 v[164:167], a[6:7], v[246:247], v[164:167]// 0000000071E4: D3F300A4 0E93ED06
	v_mfma_f32_16x16x32_fp8_fp8 v[168:171], a[16:17], v[224:225], 0// 0000000071EC: D3F300A8 0A03C110
	buffer_load_dwordx4 a[80:83], v45, s[92:95], 0 offen       // 0000000071F4: E05C1000 8097502D
	v_mfma_f32_16x16x32_fp8_fp8 v[168:171], a[18:19], v[226:227], v[168:171]// 0000000071FC: D3F300A8 0EA3C512
	v_mfma_f32_16x16x32_fp8_fp8 v[168:171], a[20:21], v[228:229], v[168:171]// 000000007204: D3F300A8 0EA3C914
	buffer_load_dword v38, s[20:23], 0 offen lds               // 00000000720C: E0511000 80050026
	s_add_u32 m0, 0x300, s50                                   // 000000007214: 807C32FF 00000300
	v_mfma_f32_16x16x32_fp8_fp8 v[168:171], a[22:23], v[230:231], v[168:171]// 00000000721C: D3F300A8 0EA3CD16
	v_mfma_f32_16x16x32_fp8_fp8 v[172:175], a[16:17], v[240:241], 0// 000000007224: D3F300AC 0A03E110
	buffer_load_dwordx4 a[84:87], v45, s[92:95], 0 offen offset:1024// 00000000722C: E05C1400 8097542D
	v_mfma_f32_16x16x32_fp8_fp8 v[172:175], a[18:19], v[242:243], v[172:175]// 000000007234: D3F300AC 0EB3E512
	v_mfma_f32_16x16x32_fp8_fp8 v[172:175], a[20:21], v[244:245], v[172:175]// 00000000723C: D3F300AC 0EB3E914
	buffer_load_dword v39, s[20:23], 0 offen lds               // 000000007244: E0511000 80050027
	s_add_u32 m0, 0x400, s50                                   // 00000000724C: 807C32FF 00000400
	v_mfma_f32_16x16x32_fp8_fp8 v[172:175], a[22:23], v[246:247], v[172:175]// 000000007254: D3F300AC 0EB3ED16
	v_mfma_f32_16x16x32_fp8_fp8 v[176:179], a[32:33], v[224:225], 0// 00000000725C: D3F300B0 0A03C120
	buffer_load_dwordx4 a[96:99], v46, s[92:95], 0 offen       // 000000007264: E05C1000 8097602E
	v_mfma_f32_16x16x32_fp8_fp8 v[176:179], a[34:35], v[226:227], v[176:179]// 00000000726C: D3F300B0 0EC3C522
	v_mfma_f32_16x16x32_fp8_fp8 v[176:179], a[36:37], v[228:229], v[176:179]// 000000007274: D3F300B0 0EC3C924
	buffer_load_dword v40, s[20:23], 0 offen lds               // 00000000727C: E0511000 80050028
	s_add_u32 m0, 0x500, s50                                   // 000000007284: 807C32FF 00000500
	v_mfma_f32_16x16x32_fp8_fp8 v[176:179], a[38:39], v[230:231], v[176:179]// 00000000728C: D3F300B0 0EC3CD26
	v_mfma_f32_16x16x32_fp8_fp8 v[180:183], a[32:33], v[240:241], 0// 000000007294: D3F300B4 0A03E120
	buffer_load_dwordx4 a[100:103], v46, s[92:95], 0 offen offset:1024// 00000000729C: E05C1400 8097642E
	v_mfma_f32_16x16x32_fp8_fp8 v[180:183], a[34:35], v[242:243], v[180:183]// 0000000072A4: D3F300B4 0ED3E522
	v_mfma_f32_16x16x32_fp8_fp8 v[180:183], a[36:37], v[244:245], v[180:183]// 0000000072AC: D3F300B4 0ED3E924
	buffer_load_dword v41, s[20:23], 0 offen lds               // 0000000072B4: E0511000 80050029
	s_add_u32 m0, 0x600, s50                                   // 0000000072BC: 807C32FF 00000600
	v_mfma_f32_16x16x32_fp8_fp8 v[180:183], a[38:39], v[246:247], v[180:183]// 0000000072C4: D3F300B4 0ED3ED26
	v_mfma_f32_16x16x32_fp8_fp8 v[184:187], a[48:49], v[224:225], 0// 0000000072CC: D3F300B8 0A03C130
	buffer_load_dwordx4 a[112:115], v47, s[92:95], 0 offen     // 0000000072D4: E05C1000 8097702F
	v_mfma_f32_16x16x32_fp8_fp8 v[184:187], a[50:51], v[226:227], v[184:187]// 0000000072DC: D3F300B8 0EE3C532
	v_mfma_f32_16x16x32_fp8_fp8 v[184:187], a[52:53], v[228:229], v[184:187]// 0000000072E4: D3F300B8 0EE3C934
	buffer_load_dword v42, s[20:23], 0 offen lds               // 0000000072EC: E0511000 8005002A
	s_add_u32 m0, 0x700, s50                                   // 0000000072F4: 807C32FF 00000700
	v_mfma_f32_16x16x32_fp8_fp8 v[184:187], a[54:55], v[230:231], v[184:187]// 0000000072FC: D3F300B8 0EE3CD36
	v_mfma_f32_16x16x32_fp8_fp8 v[188:191], a[48:49], v[240:241], 0// 000000007304: D3F300BC 0A03E130
	buffer_load_dwordx4 a[116:119], v47, s[92:95], 0 offen offset:1024// 00000000730C: E05C1400 8097742F
	v_mfma_f32_16x16x32_fp8_fp8 v[188:191], a[50:51], v[242:243], v[188:191]// 000000007314: D3F300BC 0EF3E532
	v_mfma_f32_16x16x32_fp8_fp8 v[188:191], a[52:53], v[244:245], v[188:191]// 00000000731C: D3F300BC 0EF3E934
	buffer_load_dword v43, s[20:23], 0 offen lds               // 000000007324: E0511000 8005002B
	s_add_u32 m0, s50, s76                                     // 00000000732C: 807C4C32
	v_mfma_f32_16x16x32_fp8_fp8 v[188:191], a[54:55], v[246:247], v[188:191]// 000000007330: D3F300BC 0EF3ED36
	buffer_load_dword v7, s[28:31], 0 offen lds                // 000000007338: E0511000 80070007
	s_add_u32 m0, 0, s51                                       // 000000007340: 807C3380
	buffer_load_dword v24, v13, s[32:35], 0 offen              // 000000007344: E0501000 8008180D
	v_mul_f32_dpp v56, v23, v19 row_newbcast:0 row_mask:0xf bank_mask:0xf// 00000000734C: 0A7026FA FF015017
	v_mov_b32_e32 v57, v56                                     // 000000007354: 7E720338
	v_pk_fma_f32 v[128:129], v[160:161], v[56:57], v[128:129]  // 000000007358: D3B04080 1E0271A0
	v_pk_fma_f32 v[130:131], v[162:163], v[56:57], v[130:131]  // 000000007360: D3B04082 1E0A71A2
	v_pk_fma_f32 v[136:137], v[168:169], v[56:57], v[136:137]  // 000000007368: D3B04088 1E2271A8
	v_pk_fma_f32 v[138:139], v[170:171], v[56:57], v[138:139]  // 000000007370: D3B0408A 1E2A71AA
	v_mul_f32_dpp v56, v23, v19 row_newbcast:1 row_mask:0xf bank_mask:0xf// 000000007378: 0A7026FA FF015117
	v_mov_b32_e32 v57, v56                                     // 000000007380: 7E720338
	v_pk_fma_f32 v[144:145], v[176:177], v[56:57], v[144:145]  // 000000007384: D3B04090 1E4271B0
	v_pk_fma_f32 v[146:147], v[178:179], v[56:57], v[146:147]  // 00000000738C: D3B04092 1E4A71B2
	v_pk_fma_f32 v[152:153], v[184:185], v[56:57], v[152:153]  // 000000007394: D3B04098 1E6271B8
	v_pk_fma_f32 v[154:155], v[186:187], v[56:57], v[154:155]  // 00000000739C: D3B0409A 1E6A71BA
	v_mul_f32_dpp v56, v23, v20 row_newbcast:0 row_mask:0xf bank_mask:0xf// 0000000073A4: 0A7028FA FF015017
	v_mov_b32_e32 v57, v56                                     // 0000000073AC: 7E720338
	v_pk_fma_f32 v[132:133], v[164:165], v[56:57], v[132:133]  // 0000000073B0: D3B04084 1E1271A4
	v_pk_fma_f32 v[134:135], v[166:167], v[56:57], v[134:135]  // 0000000073B8: D3B04086 1E1A71A6
	v_pk_fma_f32 v[140:141], v[172:173], v[56:57], v[140:141]  // 0000000073C0: D3B0408C 1E3271AC
	v_pk_fma_f32 v[142:143], v[174:175], v[56:57], v[142:143]  // 0000000073C8: D3B0408E 1E3A71AE
	v_mul_f32_dpp v56, v23, v20 row_newbcast:1 row_mask:0xf bank_mask:0xf// 0000000073D0: 0A7028FA FF015117
	v_mov_b32_e32 v57, v56                                     // 0000000073D8: 7E720338
	v_pk_fma_f32 v[148:149], v[180:181], v[56:57], v[148:149]  // 0000000073DC: D3B04094 1E5271B4
	v_pk_fma_f32 v[150:151], v[182:183], v[56:57], v[150:151]  // 0000000073E4: D3B04096 1E5A71B6
	v_pk_fma_f32 v[156:157], v[188:189], v[56:57], v[156:157]  // 0000000073EC: D3B0409C 1E7271BC
	v_pk_fma_f32 v[158:159], v[190:191], v[56:57], v[158:159]  // 0000000073F4: D3B0409E 1E7A71BE
	s_waitcnt vmcnt(22)                                        // 0000000073FC: BF8C4F76
	v_mfma_f32_16x16x32_fp8_fp8 v[160:163], a[8:9], v[232:233], 0// 000000007400: D3F300A0 0A03D108
	buffer_load_dwordx4 a[72:75], v44, s[92:95], 0 offen offset:2048// 000000007408: E05C1800 8097482C
	v_mfma_f32_16x16x32_fp8_fp8 v[160:163], a[10:11], v[234:235], v[160:163]// 000000007410: D3F300A0 0E83D50A
	v_mfma_f32_16x16x32_fp8_fp8 v[160:163], a[12:13], v[236:237], v[160:163]// 000000007418: D3F300A0 0E83D90C
	v_mfma_f32_16x16x32_fp8_fp8 v[160:163], a[14:15], v[238:239], v[160:163]// 000000007420: D3F300A0 0E83DD0E
	v_mfma_f32_16x16x32_fp8_fp8 v[164:167], a[8:9], v[248:249], 0// 000000007428: D3F300A4 0A03F108
	buffer_load_dwordx4 a[76:79], v44, s[92:95], 0 offen offset:3072// 000000007430: E05C1C00 80974C2C
	v_mfma_f32_16x16x32_fp8_fp8 v[164:167], a[10:11], v[250:251], v[164:167]// 000000007438: D3F300A4 0E93F50A
	v_mfma_f32_16x16x32_fp8_fp8 v[164:167], a[12:13], v[252:253], v[164:167]// 000000007440: D3F300A4 0E93F90C
	v_mfma_f32_16x16x32_fp8_fp8 v[164:167], a[14:15], v[254:255], v[164:167]// 000000007448: D3F300A4 0E93FD0E
	v_mfma_f32_16x16x32_fp8_fp8 v[168:171], a[24:25], v[232:233], 0// 000000007450: D3F300A8 0A03D118
	buffer_load_dwordx4 a[88:91], v45, s[92:95], 0 offen offset:2048// 000000007458: E05C1800 8097582D
	v_mfma_f32_16x16x32_fp8_fp8 v[168:171], a[26:27], v[234:235], v[168:171]// 000000007460: D3F300A8 0EA3D51A
	v_mfma_f32_16x16x32_fp8_fp8 v[168:171], a[28:29], v[236:237], v[168:171]// 000000007468: D3F300A8 0EA3D91C
	v_mfma_f32_16x16x32_fp8_fp8 v[168:171], a[30:31], v[238:239], v[168:171]// 000000007470: D3F300A8 0EA3DD1E
	v_mfma_f32_16x16x32_fp8_fp8 v[172:175], a[24:25], v[248:249], 0// 000000007478: D3F300AC 0A03F118
	buffer_load_dwordx4 a[92:95], v45, s[92:95], 0 offen offset:3072// 000000007480: E05C1C00 80975C2D
	v_mfma_f32_16x16x32_fp8_fp8 v[172:175], a[26:27], v[250:251], v[172:175]// 000000007488: D3F300AC 0EB3F51A
	v_mfma_f32_16x16x32_fp8_fp8 v[172:175], a[28:29], v[252:253], v[172:175]// 000000007490: D3F300AC 0EB3F91C
	v_mfma_f32_16x16x32_fp8_fp8 v[172:175], a[30:31], v[254:255], v[172:175]// 000000007498: D3F300AC 0EB3FD1E
	s_waitcnt vmcnt(22)                                        // 0000000074A0: BF8C4F76
	v_mfma_f32_16x16x32_fp8_fp8 v[176:179], a[40:41], v[232:233], 0// 0000000074A4: D3F300B0 0A03D128
	buffer_load_dwordx4 a[104:107], v46, s[92:95], 0 offen offset:2048// 0000000074AC: E05C1800 8097682E
	v_mfma_f32_16x16x32_fp8_fp8 v[176:179], a[42:43], v[234:235], v[176:179]// 0000000074B4: D3F300B0 0EC3D52A
	v_mfma_f32_16x16x32_fp8_fp8 v[176:179], a[44:45], v[236:237], v[176:179]// 0000000074BC: D3F300B0 0EC3D92C
	v_mfma_f32_16x16x32_fp8_fp8 v[176:179], a[46:47], v[238:239], v[176:179]// 0000000074C4: D3F300B0 0EC3DD2E
	v_mfma_f32_16x16x32_fp8_fp8 v[180:183], a[40:41], v[248:249], 0// 0000000074CC: D3F300B4 0A03F128
	buffer_load_dwordx4 a[108:111], v46, s[92:95], 0 offen offset:3072// 0000000074D4: E05C1C00 80976C2E
	v_mfma_f32_16x16x32_fp8_fp8 v[180:183], a[42:43], v[250:251], v[180:183]// 0000000074DC: D3F300B4 0ED3F52A
	v_mfma_f32_16x16x32_fp8_fp8 v[180:183], a[44:45], v[252:253], v[180:183]// 0000000074E4: D3F300B4 0ED3F92C
	v_mfma_f32_16x16x32_fp8_fp8 v[180:183], a[46:47], v[254:255], v[180:183]// 0000000074EC: D3F300B4 0ED3FD2E
	v_mfma_f32_16x16x32_fp8_fp8 v[184:187], a[56:57], v[232:233], 0// 0000000074F4: D3F300B8 0A03D138
	buffer_load_dwordx4 a[120:123], v47, s[92:95], 0 offen offset:2048// 0000000074FC: E05C1800 8097782F
	v_mfma_f32_16x16x32_fp8_fp8 v[184:187], a[58:59], v[234:235], v[184:187]// 000000007504: D3F300B8 0EE3D53A
	v_mfma_f32_16x16x32_fp8_fp8 v[184:187], a[60:61], v[236:237], v[184:187]// 00000000750C: D3F300B8 0EE3D93C
	v_mfma_f32_16x16x32_fp8_fp8 v[184:187], a[62:63], v[238:239], v[184:187]// 000000007514: D3F300B8 0EE3DD3E
	v_mfma_f32_16x16x32_fp8_fp8 v[188:191], a[56:57], v[248:249], 0// 00000000751C: D3F300BC 0A03F138
	buffer_load_dwordx4 a[124:127], v47, s[92:95], 0 offen offset:3072// 000000007524: E05C1C00 80977C2F
	v_mfma_f32_16x16x32_fp8_fp8 v[188:191], a[58:59], v[250:251], v[188:191]// 00000000752C: D3F300BC 0EF3F53A
	v_mfma_f32_16x16x32_fp8_fp8 v[188:191], a[60:61], v[252:253], v[188:191]// 000000007534: D3F300BC 0EF3F93C
	v_mfma_f32_16x16x32_fp8_fp8 v[188:191], a[62:63], v[254:255], v[188:191]// 00000000753C: D3F300BC 0EF3FD3E
	v_mul_f32_dpp v56, v23, v21 row_newbcast:2 row_mask:0xf bank_mask:0xf// 000000007544: 0A702AFA FF015217
	v_mov_b32_e32 v57, v56                                     // 00000000754C: 7E720338
	v_pk_fma_f32 v[128:129], v[160:161], v[56:57], v[128:129]  // 000000007550: D3B04080 1E0271A0
	v_pk_fma_f32 v[130:131], v[162:163], v[56:57], v[130:131]  // 000000007558: D3B04082 1E0A71A2
	v_pk_fma_f32 v[136:137], v[168:169], v[56:57], v[136:137]  // 000000007560: D3B04088 1E2271A8
	v_pk_fma_f32 v[138:139], v[170:171], v[56:57], v[138:139]  // 000000007568: D3B0408A 1E2A71AA
	v_mul_f32_dpp v56, v23, v21 row_newbcast:3 row_mask:0xf bank_mask:0xf// 000000007570: 0A702AFA FF015317
	v_mov_b32_e32 v57, v56                                     // 000000007578: 7E720338
	v_pk_fma_f32 v[144:145], v[176:177], v[56:57], v[144:145]  // 00000000757C: D3B04090 1E4271B0
	v_pk_fma_f32 v[146:147], v[178:179], v[56:57], v[146:147]  // 000000007584: D3B04092 1E4A71B2
	v_pk_fma_f32 v[152:153], v[184:185], v[56:57], v[152:153]  // 00000000758C: D3B04098 1E6271B8
	v_pk_fma_f32 v[154:155], v[186:187], v[56:57], v[154:155]  // 000000007594: D3B0409A 1E6A71BA
	v_mul_f32_dpp v56, v23, v22 row_newbcast:2 row_mask:0xf bank_mask:0xf// 00000000759C: 0A702CFA FF015217
	v_mov_b32_e32 v57, v56                                     // 0000000075A4: 7E720338
	v_pk_fma_f32 v[132:133], v[164:165], v[56:57], v[132:133]  // 0000000075A8: D3B04084 1E1271A4
	v_pk_fma_f32 v[134:135], v[166:167], v[56:57], v[134:135]  // 0000000075B0: D3B04086 1E1A71A6
	v_pk_fma_f32 v[140:141], v[172:173], v[56:57], v[140:141]  // 0000000075B8: D3B0408C 1E3271AC
	v_pk_fma_f32 v[142:143], v[174:175], v[56:57], v[142:143]  // 0000000075C0: D3B0408E 1E3A71AE
	v_mul_f32_dpp v56, v23, v22 row_newbcast:3 row_mask:0xf bank_mask:0xf// 0000000075C8: 0A702CFA FF015317
	v_mov_b32_e32 v57, v56                                     // 0000000075D0: 7E720338
	v_pk_fma_f32 v[148:149], v[180:181], v[56:57], v[148:149]  // 0000000075D4: D3B04094 1E5271B4
	v_pk_fma_f32 v[150:151], v[182:183], v[56:57], v[150:151]  // 0000000075DC: D3B04096 1E5A71B6
	v_pk_fma_f32 v[156:157], v[188:189], v[56:57], v[156:157]  // 0000000075E4: D3B0409C 1E7271BC
	v_pk_fma_f32 v[158:159], v[190:191], v[56:57], v[158:159]  // 0000000075EC: D3B0409E 1E7A71BE
	s_add_u32 s60, 0x100, s80                                  // 0000000075F4: 803C50FF 00000100
	s_cmp_lt_u32 s60, s81                                      // 0000000075FC: BF0A513C
	s_cselect_b32 s4, s4, 0                                    // 000000007600: 85048004
	s_add_u32 s32, s4, s32                                     // 000000007604: 80202004
	s_addc_u32 s33, 0, s33                                     // 000000007608: 82212180
	s_waitcnt vmcnt(8)                                         // 00000000760C: BF8C0F78
	s_barrier                                                  // 000000007610: BF8A0000
	v_mfma_f32_16x16x32_fp8_fp8 v[96:99], a[64:65], v[224:225], 0// 000000007614: D3F30060 0A03C140
	buffer_load_dwordx4 a[0:3], v44, s[24:27], 0 offen         // 00000000761C: E05C1000 8086002C
	v_mfma_f32_16x16x32_fp8_fp8 v[96:99], a[66:67], v[226:227], v[96:99]// 000000007624: D3F30060 0D83C542
	v_mfma_f32_16x16x32_fp8_fp8 v[96:99], a[68:69], v[228:229], v[96:99]// 00000000762C: D3F30060 0D83C944
	buffer_load_dword v23, v11, s[32:35], 0 offen              // 000000007634: E0501000 8008170B
	v_mfma_f32_16x16x32_fp8_fp8 v[96:99], a[70:71], v[230:231], v[96:99]// 00000000763C: D3F30060 0D83CD46
	v_mfma_f32_16x16x32_fp8_fp8 v[100:103], a[64:65], v[240:241], 0// 000000007644: D3F30064 0A03E140
	buffer_load_dwordx4 a[4:7], v44, s[24:27], 0 offen offset:1024// 00000000764C: E05C1400 8086042C
	v_mfma_f32_16x16x32_fp8_fp8 v[100:103], a[66:67], v[242:243], v[100:103]// 000000007654: D3F30064 0D93E542
	v_mfma_f32_16x16x32_fp8_fp8 v[100:103], a[68:69], v[244:245], v[100:103]// 00000000765C: D3F30064 0D93E944
	v_mfma_f32_16x16x32_fp8_fp8 v[100:103], a[70:71], v[246:247], v[100:103]// 000000007664: D3F30064 0D93ED46
	v_mfma_f32_16x16x32_fp8_fp8 v[104:107], a[80:81], v[224:225], 0// 00000000766C: D3F30068 0A03C150
	buffer_load_dwordx4 a[16:19], v45, s[24:27], 0 offen       // 000000007674: E05C1000 8086102D
	v_mfma_f32_16x16x32_fp8_fp8 v[104:107], a[82:83], v[226:227], v[104:107]// 00000000767C: D3F30068 0DA3C552
	v_mfma_f32_16x16x32_fp8_fp8 v[104:107], a[84:85], v[228:229], v[104:107]// 000000007684: D3F30068 0DA3C954
	v_mfma_f32_16x16x32_fp8_fp8 v[104:107], a[86:87], v[230:231], v[104:107]// 00000000768C: D3F30068 0DA3CD56
	v_mfma_f32_16x16x32_fp8_fp8 v[108:111], a[80:81], v[240:241], 0// 000000007694: D3F3006C 0A03E150
	buffer_load_dwordx4 a[20:23], v45, s[24:27], 0 offen offset:1024// 00000000769C: E05C1400 8086142D
	v_mfma_f32_16x16x32_fp8_fp8 v[108:111], a[82:83], v[242:243], v[108:111]// 0000000076A4: D3F3006C 0DB3E552
	v_mfma_f32_16x16x32_fp8_fp8 v[108:111], a[84:85], v[244:245], v[108:111]// 0000000076AC: D3F3006C 0DB3E954
	v_mfma_f32_16x16x32_fp8_fp8 v[108:111], a[86:87], v[246:247], v[108:111]// 0000000076B4: D3F3006C 0DB3ED56
	v_mfma_f32_16x16x32_fp8_fp8 v[112:115], a[96:97], v[224:225], 0// 0000000076BC: D3F30070 0A03C160
	buffer_load_dwordx4 a[32:35], v46, s[24:27], 0 offen       // 0000000076C4: E05C1000 8086202E
	v_mfma_f32_16x16x32_fp8_fp8 v[112:115], a[98:99], v[226:227], v[112:115]// 0000000076CC: D3F30070 0DC3C562
	v_mfma_f32_16x16x32_fp8_fp8 v[112:115], a[100:101], v[228:229], v[112:115]// 0000000076D4: D3F30070 0DC3C964
	v_mfma_f32_16x16x32_fp8_fp8 v[112:115], a[102:103], v[230:231], v[112:115]// 0000000076DC: D3F30070 0DC3CD66
	v_mfma_f32_16x16x32_fp8_fp8 v[116:119], a[96:97], v[240:241], 0// 0000000076E4: D3F30074 0A03E160
	buffer_load_dwordx4 a[36:39], v46, s[24:27], 0 offen offset:1024// 0000000076EC: E05C1400 8086242E
	v_mfma_f32_16x16x32_fp8_fp8 v[116:119], a[98:99], v[242:243], v[116:119]// 0000000076F4: D3F30074 0DD3E562
	v_mfma_f32_16x16x32_fp8_fp8 v[116:119], a[100:101], v[244:245], v[116:119]// 0000000076FC: D3F30074 0DD3E964
	v_mfma_f32_16x16x32_fp8_fp8 v[116:119], a[102:103], v[246:247], v[116:119]// 000000007704: D3F30074 0DD3ED66
	v_mfma_f32_16x16x32_fp8_fp8 v[120:123], a[112:113], v[224:225], 0// 00000000770C: D3F30078 0A03C170
	buffer_load_dwordx4 a[48:51], v47, s[24:27], 0 offen       // 000000007714: E05C1000 8086302F
	v_mfma_f32_16x16x32_fp8_fp8 v[120:123], a[114:115], v[226:227], v[120:123]// 00000000771C: D3F30078 0DE3C572
	v_mfma_f32_16x16x32_fp8_fp8 v[120:123], a[116:117], v[228:229], v[120:123]// 000000007724: D3F30078 0DE3C974
	v_mfma_f32_16x16x32_fp8_fp8 v[120:123], a[118:119], v[230:231], v[120:123]// 00000000772C: D3F30078 0DE3CD76
	v_mfma_f32_16x16x32_fp8_fp8 v[124:127], a[112:113], v[240:241], 0// 000000007734: D3F3007C 0A03E170
	buffer_load_dwordx4 a[52:55], v47, s[24:27], 0 offen offset:1024// 00000000773C: E05C1400 8086342F
	v_mfma_f32_16x16x32_fp8_fp8 v[124:127], a[114:115], v[242:243], v[124:127]// 000000007744: D3F3007C 0DF3E572
	v_mfma_f32_16x16x32_fp8_fp8 v[124:127], a[116:117], v[244:245], v[124:127]// 00000000774C: D3F3007C 0DF3E974
	v_mfma_f32_16x16x32_fp8_fp8 v[124:127], a[118:119], v[246:247], v[124:127]// 000000007754: D3F3007C 0DF3ED76
	v_mul_f32_dpp v56, v24, v19 row_newbcast:0 row_mask:0xf bank_mask:0xf// 00000000775C: 0A7026FA FF015018
	v_mov_b32_e32 v57, v56                                     // 000000007764: 7E720338
	v_pk_fma_f32 v[64:65], v[96:97], v[56:57], v[64:65]        // 000000007768: D3B04040 1D027160
	v_pk_fma_f32 v[66:67], v[98:99], v[56:57], v[66:67]        // 000000007770: D3B04042 1D0A7162
	v_pk_fma_f32 v[72:73], v[104:105], v[56:57], v[72:73]      // 000000007778: D3B04048 1D227168
	v_pk_fma_f32 v[74:75], v[106:107], v[56:57], v[74:75]      // 000000007780: D3B0404A 1D2A716A
	v_mul_f32_dpp v56, v24, v19 row_newbcast:1 row_mask:0xf bank_mask:0xf// 000000007788: 0A7026FA FF015118
	v_mov_b32_e32 v57, v56                                     // 000000007790: 7E720338
	v_pk_fma_f32 v[80:81], v[112:113], v[56:57], v[80:81]      // 000000007794: D3B04050 1D427170
	v_pk_fma_f32 v[82:83], v[114:115], v[56:57], v[82:83]      // 00000000779C: D3B04052 1D4A7172
	v_pk_fma_f32 v[88:89], v[120:121], v[56:57], v[88:89]      // 0000000077A4: D3B04058 1D627178
	v_pk_fma_f32 v[90:91], v[122:123], v[56:57], v[90:91]      // 0000000077AC: D3B0405A 1D6A717A
	v_mul_f32_dpp v56, v24, v20 row_newbcast:0 row_mask:0xf bank_mask:0xf// 0000000077B4: 0A7028FA FF015018
	v_mov_b32_e32 v57, v56                                     // 0000000077BC: 7E720338
	v_pk_fma_f32 v[68:69], v[100:101], v[56:57], v[68:69]      // 0000000077C0: D3B04044 1D127164
	v_pk_fma_f32 v[70:71], v[102:103], v[56:57], v[70:71]      // 0000000077C8: D3B04046 1D1A7166
	v_pk_fma_f32 v[76:77], v[108:109], v[56:57], v[76:77]      // 0000000077D0: D3B0404C 1D32716C
	v_pk_fma_f32 v[78:79], v[110:111], v[56:57], v[78:79]      // 0000000077D8: D3B0404E 1D3A716E
	v_mul_f32_dpp v56, v24, v20 row_newbcast:1 row_mask:0xf bank_mask:0xf// 0000000077E0: 0A7028FA FF015118
	v_mov_b32_e32 v57, v56                                     // 0000000077E8: 7E720338
	v_pk_fma_f32 v[84:85], v[116:117], v[56:57], v[84:85]      // 0000000077EC: D3B04054 1D527174
	v_pk_fma_f32 v[86:87], v[118:119], v[56:57], v[86:87]      // 0000000077F4: D3B04056 1D5A7176
	v_pk_fma_f32 v[92:93], v[124:125], v[56:57], v[92:93]      // 0000000077FC: D3B0405C 1D72717C
	v_pk_fma_f32 v[94:95], v[126:127], v[56:57], v[94:95]      // 000000007804: D3B0405E 1D7A717E
	s_waitcnt vmcnt(13)                                        // 00000000780C: BF8C0F7D
	v_mfma_f32_16x16x32_fp8_fp8 v[96:99], a[72:73], v[232:233], 0// 000000007810: D3F30060 0A03D148
	buffer_load_dwordx4 a[8:11], v44, s[24:27], 0 offen offset:2048// 000000007818: E05C1800 8086082C
	v_mfma_f32_16x16x32_fp8_fp8 v[96:99], a[74:75], v[234:235], v[96:99]// 000000007820: D3F30060 0D83D54A
	v_mfma_f32_16x16x32_fp8_fp8 v[96:99], a[76:77], v[236:237], v[96:99]// 000000007828: D3F30060 0D83D94C
	ds_read_b128 v[192:195], v2                                // 000000007830: D9FE0000 C0000002
	ds_read_b32 v15, v3 offset:8320                            // 000000007838: D86C2080 0F000003
	v_mfma_f32_16x16x32_fp8_fp8 v[96:99], a[78:79], v[238:239], v[96:99]// 000000007840: D3F30060 0D83DD4E
	v_mfma_f32_16x16x32_fp8_fp8 v[100:103], a[72:73], v[248:249], 0// 000000007848: D3F30064 0A03F148
	buffer_load_dwordx4 a[12:15], v44, s[24:27], 0 offen offset:3072// 000000007850: E05C1C00 80860C2C
	v_mfma_f32_16x16x32_fp8_fp8 v[100:103], a[74:75], v[250:251], v[100:103]// 000000007858: D3F30064 0D93F54A
	v_mfma_f32_16x16x32_fp8_fp8 v[100:103], a[76:77], v[252:253], v[100:103]// 000000007860: D3F30064 0D93F94C
	ds_read_b128 v[196:199], v2 offset:64                      // 000000007868: D9FE0040 C4000002
	ds_read_b32 v16, v3 offset:8576                            // 000000007870: D86C2180 10000003
	v_mfma_f32_16x16x32_fp8_fp8 v[100:103], a[78:79], v[254:255], v[100:103]// 000000007878: D3F30064 0D93FD4E
	v_mfma_f32_16x16x32_fp8_fp8 v[104:107], a[88:89], v[232:233], 0// 000000007880: D3F30068 0A03D158
	buffer_load_dwordx4 a[24:27], v45, s[24:27], 0 offen offset:2048// 000000007888: E05C1800 8086182D
	v_mfma_f32_16x16x32_fp8_fp8 v[104:107], a[90:91], v[234:235], v[104:107]// 000000007890: D3F30068 0DA3D55A
	v_mfma_f32_16x16x32_fp8_fp8 v[104:107], a[92:93], v[236:237], v[104:107]// 000000007898: D3F30068 0DA3D95C
	ds_read_b128 v[200:203], v2 offset:128                     // 0000000078A0: D9FE0080 C8000002
	ds_read_b32 v17, v3 offset:8832                            // 0000000078A8: D86C2280 11000003
	v_mfma_f32_16x16x32_fp8_fp8 v[104:107], a[94:95], v[238:239], v[104:107]// 0000000078B0: D3F30068 0DA3DD5E
	v_mfma_f32_16x16x32_fp8_fp8 v[108:111], a[88:89], v[248:249], 0// 0000000078B8: D3F3006C 0A03F158
	buffer_load_dwordx4 a[28:31], v45, s[24:27], 0 offen offset:3072// 0000000078C0: E05C1C00 80861C2D
	v_mfma_f32_16x16x32_fp8_fp8 v[108:111], a[90:91], v[250:251], v[108:111]// 0000000078C8: D3F3006C 0DB3F55A
	v_mfma_f32_16x16x32_fp8_fp8 v[108:111], a[92:93], v[252:253], v[108:111]// 0000000078D0: D3F3006C 0DB3F95C
	ds_read_b128 v[204:207], v2 offset:192                     // 0000000078D8: D9FE00C0 CC000002
	ds_read_b32 v18, v3 offset:9088                            // 0000000078E0: D86C2380 12000003
	v_mfma_f32_16x16x32_fp8_fp8 v[108:111], a[94:95], v[254:255], v[108:111]// 0000000078E8: D3F3006C 0DB3FD5E
	s_waitcnt vmcnt(13)                                        // 0000000078F0: BF8C0F7D
	v_mfma_f32_16x16x32_fp8_fp8 v[112:115], a[104:105], v[232:233], 0// 0000000078F4: D3F30070 0A03D168
	buffer_load_dwordx4 a[40:43], v46, s[24:27], 0 offen offset:2048// 0000000078FC: E05C1800 8086282E
	v_mfma_f32_16x16x32_fp8_fp8 v[112:115], a[106:107], v[234:235], v[112:115]// 000000007904: D3F30070 0DC3D56A
	v_mfma_f32_16x16x32_fp8_fp8 v[112:115], a[108:109], v[236:237], v[112:115]// 00000000790C: D3F30070 0DC3D96C
	ds_read_b128 v[208:211], v2 offset:1024                    // 000000007914: D9FE0400 D0000002
	v_mfma_f32_16x16x32_fp8_fp8 v[112:115], a[110:111], v[238:239], v[112:115]// 00000000791C: D3F30070 0DC3DD6E
	v_mfma_f32_16x16x32_fp8_fp8 v[116:119], a[104:105], v[248:249], 0// 000000007924: D3F30074 0A03F168
	buffer_load_dwordx4 a[44:47], v46, s[24:27], 0 offen offset:3072// 00000000792C: E05C1C00 80862C2E
	v_mfma_f32_16x16x32_fp8_fp8 v[116:119], a[106:107], v[250:251], v[116:119]// 000000007934: D3F30074 0DD3F56A
	v_mfma_f32_16x16x32_fp8_fp8 v[116:119], a[108:109], v[252:253], v[116:119]// 00000000793C: D3F30074 0DD3F96C
	ds_read_b128 v[212:215], v2 offset:1088                    // 000000007944: D9FE0440 D4000002
	v_mfma_f32_16x16x32_fp8_fp8 v[116:119], a[110:111], v[254:255], v[116:119]// 00000000794C: D3F30074 0DD3FD6E
	v_mfma_f32_16x16x32_fp8_fp8 v[120:123], a[120:121], v[232:233], 0// 000000007954: D3F30078 0A03D178
	buffer_load_dwordx4 a[56:59], v47, s[24:27], 0 offen offset:2048// 00000000795C: E05C1800 8086382F
	v_mfma_f32_16x16x32_fp8_fp8 v[120:123], a[122:123], v[234:235], v[120:123]// 000000007964: D3F30078 0DE3D57A
	v_mfma_f32_16x16x32_fp8_fp8 v[120:123], a[124:125], v[236:237], v[120:123]// 00000000796C: D3F30078 0DE3D97C
	ds_read_b128 v[216:219], v2 offset:1152                    // 000000007974: D9FE0480 D8000002
	v_mfma_f32_16x16x32_fp8_fp8 v[120:123], a[126:127], v[238:239], v[120:123]// 00000000797C: D3F30078 0DE3DD7E
	v_mfma_f32_16x16x32_fp8_fp8 v[124:127], a[120:121], v[248:249], 0// 000000007984: D3F3007C 0A03F178
	buffer_load_dwordx4 a[60:63], v47, s[24:27], 0 offen offset:3072// 00000000798C: E05C1C00 80863C2F
	v_mfma_f32_16x16x32_fp8_fp8 v[124:127], a[122:123], v[250:251], v[124:127]// 000000007994: D3F3007C 0DF3F57A
	v_mfma_f32_16x16x32_fp8_fp8 v[124:127], a[124:125], v[252:253], v[124:127]// 00000000799C: D3F3007C 0DF3F97C
	ds_read_b128 v[220:223], v2 offset:1216                    // 0000000079A4: D9FE04C0 DC000002
	v_mfma_f32_16x16x32_fp8_fp8 v[124:127], a[126:127], v[254:255], v[124:127]// 0000000079AC: D3F3007C 0DF3FD7E
	v_mul_f32_dpp v56, v24, v21 row_newbcast:2 row_mask:0xf bank_mask:0xf// 0000000079B4: 0A702AFA FF015218
	v_mov_b32_e32 v57, v56                                     // 0000000079BC: 7E720338
	v_pk_fma_f32 v[64:65], v[96:97], v[56:57], v[64:65]        // 0000000079C0: D3B04040 1D027160
	v_pk_fma_f32 v[66:67], v[98:99], v[56:57], v[66:67]        // 0000000079C8: D3B04042 1D0A7162
	v_pk_fma_f32 v[72:73], v[104:105], v[56:57], v[72:73]      // 0000000079D0: D3B04048 1D227168
	v_pk_fma_f32 v[74:75], v[106:107], v[56:57], v[74:75]      // 0000000079D8: D3B0404A 1D2A716A
	v_mul_f32_dpp v56, v24, v21 row_newbcast:3 row_mask:0xf bank_mask:0xf// 0000000079E0: 0A702AFA FF015318
	v_mov_b32_e32 v57, v56                                     // 0000000079E8: 7E720338
	v_pk_fma_f32 v[80:81], v[112:113], v[56:57], v[80:81]      // 0000000079EC: D3B04050 1D427170
	v_pk_fma_f32 v[82:83], v[114:115], v[56:57], v[82:83]      // 0000000079F4: D3B04052 1D4A7172
	v_pk_fma_f32 v[88:89], v[120:121], v[56:57], v[88:89]      // 0000000079FC: D3B04058 1D627178
	v_pk_fma_f32 v[90:91], v[122:123], v[56:57], v[90:91]      // 000000007A04: D3B0405A 1D6A717A
	v_mul_f32_dpp v56, v24, v22 row_newbcast:2 row_mask:0xf bank_mask:0xf// 000000007A0C: 0A702CFA FF015218
	v_mov_b32_e32 v57, v56                                     // 000000007A14: 7E720338
	v_pk_fma_f32 v[68:69], v[100:101], v[56:57], v[68:69]      // 000000007A18: D3B04044 1D127164
	v_pk_fma_f32 v[70:71], v[102:103], v[56:57], v[70:71]      // 000000007A20: D3B04046 1D1A7166
	v_pk_fma_f32 v[76:77], v[108:109], v[56:57], v[76:77]      // 000000007A28: D3B0404C 1D32716C
	v_pk_fma_f32 v[78:79], v[110:111], v[56:57], v[78:79]      // 000000007A30: D3B0404E 1D3A716E
	v_mul_f32_dpp v56, v24, v22 row_newbcast:3 row_mask:0xf bank_mask:0xf// 000000007A38: 0A702CFA FF015318
	v_mov_b32_e32 v57, v56                                     // 000000007A40: 7E720338
	v_pk_fma_f32 v[84:85], v[116:117], v[56:57], v[84:85]      // 000000007A44: D3B04054 1D527174
	v_pk_fma_f32 v[86:87], v[118:119], v[56:57], v[86:87]      // 000000007A4C: D3B04056 1D5A7176
	v_pk_fma_f32 v[92:93], v[124:125], v[56:57], v[92:93]      // 000000007A54: D3B0405C 1D72717C
	v_pk_fma_f32 v[94:95], v[126:127], v[56:57], v[94:95]      // 000000007A5C: D3B0405E 1D7A717E
	s_add_u32 s60, 0x200, s80                                  // 000000007A64: 803C50FF 00000200
	s_cmp_lt_u32 s60, s81                                      // 000000007A6C: BF0A513C
	s_cselect_b32 s57, s57, 0                                  // 000000007A70: 85398039
	s_cselect_b32 s3, s3, 0                                    // 000000007A74: 85038003
	s_add_u32 s60, 0x200, s80                                  // 000000007A78: 803C50FF 00000200
	s_cmp_lt_u32 s60, s81                                      // 000000007A80: BF0A513C
	s_cselect_b32 s58, s58, 0                                  // 000000007A84: 853A803A
	s_add_u32 s20, s57, s20                                    // 000000007A88: 80141439
	s_addc_u32 s21, 0, s21                                     // 000000007A8C: 82151580
	s_add_u32 s28, s3, s28                                     // 000000007A90: 801C1C03
	s_addc_u32 s29, 0, s29                                     // 000000007A94: 821D1D80
	s_add_u32 s24, s58, s24                                    // 000000007A98: 8018183A
	s_addc_u32 s25, 0, s25                                     // 000000007A9C: 82191980
	s_add_u32 s92, s90, s92                                    // 000000007AA0: 805C5C5A
	s_addc_u32 s93, 0, s93                                     // 000000007AA4: 825D5D80
	s_addk_i32 s80, 0x100                                      // 000000007AA8: B7500100
	s_cmp_lt_i32 s80, s81                                      // 000000007AAC: BF045150
	s_cbranch_scc0 label_13EE                                  // 000000007AB0: BF840001
	s_branch label_0F4D                                        // 000000007AB4: BF82FB5F

0000000000007ab8 <label_13EE>:
	s_mov_b32 s36, -1                                          // 000000007AB8: BEA400C1
	s_mov_b32 s37, -1                                          // 000000007ABC: BEA500C1
	s_mov_b64 s[60:61], 0                                      // 000000007AC0: BEBC0180
	s_cmp_lt_u32 s82, s66                                      // 000000007AC4: BF0A4252
	s_cselect_b64 s[20:21], s[36:37], s[60:61]                 // 000000007AC8: 85943C24
	s_cmp_lt_u32 s83, s66                                      // 000000007ACC: BF0A4253
	s_cselect_b64 s[22:23], s[36:37], s[60:61]                 // 000000007AD0: 85963C24
	s_cmp_lt_u32 s84, s66                                      // 000000007AD4: BF0A4254
	s_cselect_b64 s[24:25], s[36:37], s[60:61]                 // 000000007AD8: 85983C24
	s_cmp_lt_u32 s85, s66                                      // 000000007ADC: BF0A4255
	s_cselect_b64 s[26:27], s[36:37], s[60:61]                 // 000000007AE0: 859A3C24
	s_cmp_lt_u32 s86, s66                                      // 000000007AE4: BF0A4256
	s_cselect_b64 s[28:29], s[36:37], s[60:61]                 // 000000007AE8: 859C3C24
	s_cmp_lt_u32 s87, s66                                      // 000000007AEC: BF0A4257
	s_cselect_b64 s[30:31], s[36:37], s[60:61]                 // 000000007AF0: 859E3C24
	s_cmp_lt_u32 s88, s66                                      // 000000007AF4: BF0A4258
	s_cselect_b64 s[32:33], s[36:37], s[60:61]                 // 000000007AF8: 85A03C24
	s_cmp_lt_u32 s89, s66                                      // 000000007AFC: BF0A4259
	s_cselect_b64 s[34:35], s[36:37], s[60:61]                 // 000000007B00: 85A23C24
	s_waitcnt vmcnt(12)                                        // 000000007B04: BF8C0F7C
	buffer_load_dwordx4 a[0:3], v48, s[12:15], 0 offen         // 000000007B08: E05C1000 80830030
	v_mul_f32_e64 v56, -v128, s6                               // 000000007B10: D1050038 20000D80
	v_mul_f32_e64 v57, -v129, s6                               // 000000007B18: D1050039 20000D81
	v_mul_f32_e64 v58, -v130, s6                               // 000000007B20: D105003A 20000D82
	v_mul_f32_e64 v59, -v131, s6                               // 000000007B28: D105003B 20000D83
	v_exp_f32_e32 v56, v56                                     // 000000007B30: 7E704138
	v_exp_f32_e32 v57, v57                                     // 000000007B34: 7E724139
	v_exp_f32_e32 v58, v58                                     // 000000007B38: 7E74413A
	v_exp_f32_e32 v59, v59                                     // 000000007B3C: 7E76413B
	buffer_load_dwordx4 a[4:7], v49, s[12:15], 0 offen         // 000000007B40: E05C1000 80830431
	v_add_f32_e64 v56, v56, 1.0                                // 000000007B48: D1010038 0001E538
	v_add_f32_e64 v57, v57, 1.0                                // 000000007B50: D1010039 0001E539
	v_add_f32_e64 v58, v58, 1.0                                // 000000007B58: D101003A 0001E53A
	v_add_f32_e64 v59, v59, 1.0                                // 000000007B60: D101003B 0001E53B
	v_rcp_f32_e32 v56, v56                                     // 000000007B68: 7E704538
	v_rcp_f32_e32 v57, v57                                     // 000000007B6C: 7E724539
	v_rcp_f32_e32 v58, v58                                     // 000000007B70: 7E74453A
	v_rcp_f32_e32 v59, v59                                     // 000000007B74: 7E76453B
	v_mul_f32_e32 v128, v128, v56                              // 000000007B78: 0B007180
	v_mul_f32_e32 v129, v129, v57                              // 000000007B7C: 0B027381
	v_mul_f32_e32 v130, v130, v58                              // 000000007B80: 0B047582
	v_mul_f32_e32 v131, v131, v59                              // 000000007B84: 0B067783
	v_mul_f32_e32 v128, v128, v64                              // 000000007B88: 0B008180
	v_mul_f32_e32 v129, v129, v65                              // 000000007B8C: 0B028381
	v_mul_f32_e32 v130, v130, v66                              // 000000007B90: 0B048582
	v_mul_f32_e32 v131, v131, v67                              // 000000007B94: 0B068783
	buffer_load_dwordx4 a[8:11], v50, s[12:15], 0 offen        // 000000007B98: E05C1000 80830832
	v_mul_f32_e64 v56, -v132, s6                               // 000000007BA0: D1050038 20000D84
	v_mul_f32_e64 v57, -v133, s6                               // 000000007BA8: D1050039 20000D85
	v_mul_f32_e64 v58, -v134, s6                               // 000000007BB0: D105003A 20000D86
	v_mul_f32_e64 v59, -v135, s6                               // 000000007BB8: D105003B 20000D87
	v_exp_f32_e32 v56, v56                                     // 000000007BC0: 7E704138
	v_exp_f32_e32 v57, v57                                     // 000000007BC4: 7E724139
	v_exp_f32_e32 v58, v58                                     // 000000007BC8: 7E74413A
	v_exp_f32_e32 v59, v59                                     // 000000007BCC: 7E76413B
	buffer_load_dwordx4 a[12:15], v51, s[12:15], 0 offen       // 000000007BD0: E05C1000 80830C33
	s_add_u32 s12, s78, s12                                    // 000000007BD8: 800C0C4E
	s_addc_u32 s13, 0, s13                                     // 000000007BDC: 820D0D80
	v_add_f32_e64 v56, v56, 1.0                                // 000000007BE0: D1010038 0001E538
	v_add_f32_e64 v57, v57, 1.0                                // 000000007BE8: D1010039 0001E539
	v_add_f32_e64 v58, v58, 1.0                                // 000000007BF0: D101003A 0001E53A
	v_add_f32_e64 v59, v59, 1.0                                // 000000007BF8: D101003B 0001E53B
	v_rcp_f32_e32 v56, v56                                     // 000000007C00: 7E704538
	v_rcp_f32_e32 v57, v57                                     // 000000007C04: 7E724539
	v_rcp_f32_e32 v58, v58                                     // 000000007C08: 7E74453A
	v_rcp_f32_e32 v59, v59                                     // 000000007C0C: 7E76453B
	v_mul_f32_e32 v132, v132, v56                              // 000000007C10: 0B087184
	v_mul_f32_e32 v133, v133, v57                              // 000000007C14: 0B0A7385
	v_mul_f32_e32 v134, v134, v58                              // 000000007C18: 0B0C7586
	v_mul_f32_e32 v135, v135, v59                              // 000000007C1C: 0B0E7787
	v_mul_f32_e32 v132, v132, v68                              // 000000007C20: 0B088984
	v_mul_f32_e32 v133, v133, v69                              // 000000007C24: 0B0A8B85
	v_mul_f32_e32 v134, v134, v70                              // 000000007C28: 0B0C8D86
	v_mul_f32_e32 v135, v135, v71                              // 000000007C2C: 0B0E8F87
	s_waitcnt vmcnt(12)                                        // 000000007C30: BF8C0F7C
	buffer_load_dwordx4 a[16:19], v48, s[12:15], 0 offen       // 000000007C34: E05C1000 80831030
	v_mul_f32_e64 v56, -v136, s6                               // 000000007C3C: D1050038 20000D88
	v_mul_f32_e64 v57, -v137, s6                               // 000000007C44: D1050039 20000D89
	v_mul_f32_e64 v58, -v138, s6                               // 000000007C4C: D105003A 20000D8A
	v_mul_f32_e64 v59, -v139, s6                               // 000000007C54: D105003B 20000D8B
	v_exp_f32_e32 v56, v56                                     // 000000007C5C: 7E704138
	v_exp_f32_e32 v57, v57                                     // 000000007C60: 7E724139
	v_exp_f32_e32 v58, v58                                     // 000000007C64: 7E74413A
	v_exp_f32_e32 v59, v59                                     // 000000007C68: 7E76413B
	buffer_load_dwordx4 a[20:23], v49, s[12:15], 0 offen       // 000000007C6C: E05C1000 80831431
	v_add_f32_e64 v56, v56, 1.0                                // 000000007C74: D1010038 0001E538
	v_add_f32_e64 v57, v57, 1.0                                // 000000007C7C: D1010039 0001E539
	v_add_f32_e64 v58, v58, 1.0                                // 000000007C84: D101003A 0001E53A
	v_add_f32_e64 v59, v59, 1.0                                // 000000007C8C: D101003B 0001E53B
	v_rcp_f32_e32 v56, v56                                     // 000000007C94: 7E704538
	v_rcp_f32_e32 v57, v57                                     // 000000007C98: 7E724539
	v_rcp_f32_e32 v58, v58                                     // 000000007C9C: 7E74453A
	v_rcp_f32_e32 v59, v59                                     // 000000007CA0: 7E76453B
	v_mul_f32_e32 v136, v136, v56                              // 000000007CA4: 0B107188
	v_mul_f32_e32 v137, v137, v57                              // 000000007CA8: 0B127389
	v_mul_f32_e32 v138, v138, v58                              // 000000007CAC: 0B14758A
	v_mul_f32_e32 v139, v139, v59                              // 000000007CB0: 0B16778B
	v_mul_f32_e32 v136, v136, v72                              // 000000007CB4: 0B109188
	v_mul_f32_e32 v137, v137, v73                              // 000000007CB8: 0B129389
	v_mul_f32_e32 v138, v138, v74                              // 000000007CBC: 0B14958A
	v_mul_f32_e32 v139, v139, v75                              // 000000007CC0: 0B16978B
	buffer_load_dwordx4 a[24:27], v50, s[12:15], 0 offen       // 000000007CC4: E05C1000 80831832
	v_mul_f32_e64 v56, -v140, s6                               // 000000007CCC: D1050038 20000D8C
	v_mul_f32_e64 v57, -v141, s6                               // 000000007CD4: D1050039 20000D8D
	v_mul_f32_e64 v58, -v142, s6                               // 000000007CDC: D105003A 20000D8E
	v_mul_f32_e64 v59, -v143, s6                               // 000000007CE4: D105003B 20000D8F
	v_exp_f32_e32 v56, v56                                     // 000000007CEC: 7E704138
	v_exp_f32_e32 v57, v57                                     // 000000007CF0: 7E724139
	v_exp_f32_e32 v58, v58                                     // 000000007CF4: 7E74413A
	v_exp_f32_e32 v59, v59                                     // 000000007CF8: 7E76413B
	buffer_load_dwordx4 a[28:31], v51, s[12:15], 0 offen       // 000000007CFC: E05C1000 80831C33
	s_add_u32 s12, s78, s12                                    // 000000007D04: 800C0C4E
	s_addc_u32 s13, 0, s13                                     // 000000007D08: 820D0D80
	v_add_f32_e64 v56, v56, 1.0                                // 000000007D0C: D1010038 0001E538
	v_add_f32_e64 v57, v57, 1.0                                // 000000007D14: D1010039 0001E539
	v_add_f32_e64 v58, v58, 1.0                                // 000000007D1C: D101003A 0001E53A
	v_add_f32_e64 v59, v59, 1.0                                // 000000007D24: D101003B 0001E53B
	v_rcp_f32_e32 v56, v56                                     // 000000007D2C: 7E704538
	v_rcp_f32_e32 v57, v57                                     // 000000007D30: 7E724539
	v_rcp_f32_e32 v58, v58                                     // 000000007D34: 7E74453A
	v_rcp_f32_e32 v59, v59                                     // 000000007D38: 7E76453B
	v_mul_f32_e32 v140, v140, v56                              // 000000007D3C: 0B18718C
	v_mul_f32_e32 v141, v141, v57                              // 000000007D40: 0B1A738D
	v_mul_f32_e32 v142, v142, v58                              // 000000007D44: 0B1C758E
	v_mul_f32_e32 v143, v143, v59                              // 000000007D48: 0B1E778F
	v_mul_f32_e32 v140, v140, v76                              // 000000007D4C: 0B18998C
	v_mul_f32_e32 v141, v141, v77                              // 000000007D50: 0B1A9B8D
	v_mul_f32_e32 v142, v142, v78                              // 000000007D54: 0B1C9D8E
	v_mul_f32_e32 v143, v143, v79                              // 000000007D58: 0B1E9F8F
	s_waitcnt vmcnt(12)                                        // 000000007D5C: BF8C0F7C
	buffer_load_dwordx4 a[32:35], v48, s[12:15], 0 offen       // 000000007D60: E05C1000 80832030
	v_mul_f32_e64 v56, -v144, s6                               // 000000007D68: D1050038 20000D90
	v_mul_f32_e64 v57, -v145, s6                               // 000000007D70: D1050039 20000D91
	v_mul_f32_e64 v58, -v146, s6                               // 000000007D78: D105003A 20000D92
	v_mul_f32_e64 v59, -v147, s6                               // 000000007D80: D105003B 20000D93
	v_exp_f32_e32 v56, v56                                     // 000000007D88: 7E704138
	v_exp_f32_e32 v57, v57                                     // 000000007D8C: 7E724139
	v_exp_f32_e32 v58, v58                                     // 000000007D90: 7E74413A
	v_exp_f32_e32 v59, v59                                     // 000000007D94: 7E76413B
	buffer_load_dwordx4 a[36:39], v49, s[12:15], 0 offen       // 000000007D98: E05C1000 80832431
	v_add_f32_e64 v56, v56, 1.0                                // 000000007DA0: D1010038 0001E538
	v_add_f32_e64 v57, v57, 1.0                                // 000000007DA8: D1010039 0001E539
	v_add_f32_e64 v58, v58, 1.0                                // 000000007DB0: D101003A 0001E53A
	v_add_f32_e64 v59, v59, 1.0                                // 000000007DB8: D101003B 0001E53B
	v_rcp_f32_e32 v56, v56                                     // 000000007DC0: 7E704538
	v_rcp_f32_e32 v57, v57                                     // 000000007DC4: 7E724539
	v_rcp_f32_e32 v58, v58                                     // 000000007DC8: 7E74453A
	v_rcp_f32_e32 v59, v59                                     // 000000007DCC: 7E76453B
	v_mul_f32_e32 v144, v144, v56                              // 000000007DD0: 0B207190
	v_mul_f32_e32 v145, v145, v57                              // 000000007DD4: 0B227391
	v_mul_f32_e32 v146, v146, v58                              // 000000007DD8: 0B247592
	v_mul_f32_e32 v147, v147, v59                              // 000000007DDC: 0B267793
	v_mul_f32_e32 v144, v144, v80                              // 000000007DE0: 0B20A190
	v_mul_f32_e32 v145, v145, v81                              // 000000007DE4: 0B22A391
	v_mul_f32_e32 v146, v146, v82                              // 000000007DE8: 0B24A592
	v_mul_f32_e32 v147, v147, v83                              // 000000007DEC: 0B26A793
	buffer_load_dwordx4 a[40:43], v50, s[12:15], 0 offen       // 000000007DF0: E05C1000 80832832
	v_mul_f32_e64 v56, -v148, s6                               // 000000007DF8: D1050038 20000D94
	v_mul_f32_e64 v57, -v149, s6                               // 000000007E00: D1050039 20000D95
	v_mul_f32_e64 v58, -v150, s6                               // 000000007E08: D105003A 20000D96
	v_mul_f32_e64 v59, -v151, s6                               // 000000007E10: D105003B 20000D97
	v_exp_f32_e32 v56, v56                                     // 000000007E18: 7E704138
	v_exp_f32_e32 v57, v57                                     // 000000007E1C: 7E724139
	v_exp_f32_e32 v58, v58                                     // 000000007E20: 7E74413A
	v_exp_f32_e32 v59, v59                                     // 000000007E24: 7E76413B
	buffer_load_dwordx4 a[44:47], v51, s[12:15], 0 offen       // 000000007E28: E05C1000 80832C33
	s_add_u32 s12, s78, s12                                    // 000000007E30: 800C0C4E
	s_addc_u32 s13, 0, s13                                     // 000000007E34: 820D0D80
	v_add_f32_e64 v56, v56, 1.0                                // 000000007E38: D1010038 0001E538
	v_add_f32_e64 v57, v57, 1.0                                // 000000007E40: D1010039 0001E539
	v_add_f32_e64 v58, v58, 1.0                                // 000000007E48: D101003A 0001E53A
	v_add_f32_e64 v59, v59, 1.0                                // 000000007E50: D101003B 0001E53B
	v_rcp_f32_e32 v56, v56                                     // 000000007E58: 7E704538
	v_rcp_f32_e32 v57, v57                                     // 000000007E5C: 7E724539
	v_rcp_f32_e32 v58, v58                                     // 000000007E60: 7E74453A
	v_rcp_f32_e32 v59, v59                                     // 000000007E64: 7E76453B
	v_mul_f32_e32 v148, v148, v56                              // 000000007E68: 0B287194
	v_mul_f32_e32 v149, v149, v57                              // 000000007E6C: 0B2A7395
	v_mul_f32_e32 v150, v150, v58                              // 000000007E70: 0B2C7596
	v_mul_f32_e32 v151, v151, v59                              // 000000007E74: 0B2E7797
	v_mul_f32_e32 v148, v148, v84                              // 000000007E78: 0B28A994
	v_mul_f32_e32 v149, v149, v85                              // 000000007E7C: 0B2AAB95
	v_mul_f32_e32 v150, v150, v86                              // 000000007E80: 0B2CAD96
	v_mul_f32_e32 v151, v151, v87                              // 000000007E84: 0B2EAF97
	s_waitcnt vmcnt(12)                                        // 000000007E88: BF8C0F7C
	buffer_load_dwordx4 a[48:51], v48, s[12:15], 0 offen       // 000000007E8C: E05C1000 80833030
	v_mul_f32_e64 v56, -v152, s6                               // 000000007E94: D1050038 20000D98
	v_mul_f32_e64 v57, -v153, s6                               // 000000007E9C: D1050039 20000D99
	v_mul_f32_e64 v58, -v154, s6                               // 000000007EA4: D105003A 20000D9A
	v_mul_f32_e64 v59, -v155, s6                               // 000000007EAC: D105003B 20000D9B
	v_exp_f32_e32 v56, v56                                     // 000000007EB4: 7E704138
	v_exp_f32_e32 v57, v57                                     // 000000007EB8: 7E724139
	v_exp_f32_e32 v58, v58                                     // 000000007EBC: 7E74413A
	v_exp_f32_e32 v59, v59                                     // 000000007EC0: 7E76413B
	buffer_load_dwordx4 a[52:55], v49, s[12:15], 0 offen       // 000000007EC4: E05C1000 80833431
	v_add_f32_e64 v56, v56, 1.0                                // 000000007ECC: D1010038 0001E538
	v_add_f32_e64 v57, v57, 1.0                                // 000000007ED4: D1010039 0001E539
	v_add_f32_e64 v58, v58, 1.0                                // 000000007EDC: D101003A 0001E53A
	v_add_f32_e64 v59, v59, 1.0                                // 000000007EE4: D101003B 0001E53B
	v_rcp_f32_e32 v56, v56                                     // 000000007EEC: 7E704538
	v_rcp_f32_e32 v57, v57                                     // 000000007EF0: 7E724539
	v_rcp_f32_e32 v58, v58                                     // 000000007EF4: 7E74453A
	v_rcp_f32_e32 v59, v59                                     // 000000007EF8: 7E76453B
	v_mul_f32_e32 v152, v152, v56                              // 000000007EFC: 0B307198
	v_mul_f32_e32 v153, v153, v57                              // 000000007F00: 0B327399
	v_mul_f32_e32 v154, v154, v58                              // 000000007F04: 0B34759A
	v_mul_f32_e32 v155, v155, v59                              // 000000007F08: 0B36779B
	v_mul_f32_e32 v152, v152, v88                              // 000000007F0C: 0B30B198
	v_mul_f32_e32 v153, v153, v89                              // 000000007F10: 0B32B399
	v_mul_f32_e32 v154, v154, v90                              // 000000007F14: 0B34B59A
	v_mul_f32_e32 v155, v155, v91                              // 000000007F18: 0B36B79B
	buffer_load_dwordx4 a[56:59], v50, s[12:15], 0 offen       // 000000007F1C: E05C1000 80833832
	v_mul_f32_e64 v56, -v156, s6                               // 000000007F24: D1050038 20000D9C
	v_mul_f32_e64 v57, -v157, s6                               // 000000007F2C: D1050039 20000D9D
	v_mul_f32_e64 v58, -v158, s6                               // 000000007F34: D105003A 20000D9E
	v_mul_f32_e64 v59, -v159, s6                               // 000000007F3C: D105003B 20000D9F
	v_exp_f32_e32 v56, v56                                     // 000000007F44: 7E704138
	v_exp_f32_e32 v57, v57                                     // 000000007F48: 7E724139
	v_exp_f32_e32 v58, v58                                     // 000000007F4C: 7E74413A
	v_exp_f32_e32 v59, v59                                     // 000000007F50: 7E76413B
	buffer_load_dwordx4 a[60:63], v51, s[12:15], 0 offen       // 000000007F54: E05C1000 80833C33
	v_add_f32_e64 v56, v56, 1.0                                // 000000007F5C: D1010038 0001E538
	v_add_f32_e64 v57, v57, 1.0                                // 000000007F64: D1010039 0001E539
	v_add_f32_e64 v58, v58, 1.0                                // 000000007F6C: D101003A 0001E53A
	v_add_f32_e64 v59, v59, 1.0                                // 000000007F74: D101003B 0001E53B
	v_rcp_f32_e32 v56, v56                                     // 000000007F7C: 7E704538
	v_rcp_f32_e32 v57, v57                                     // 000000007F80: 7E724539
	v_rcp_f32_e32 v58, v58                                     // 000000007F84: 7E74453A
	v_rcp_f32_e32 v59, v59                                     // 000000007F88: 7E76453B
	v_mul_f32_e32 v156, v156, v56                              // 000000007F8C: 0B38719C
	v_mul_f32_e32 v157, v157, v57                              // 000000007F90: 0B3A739D
	v_mul_f32_e32 v158, v158, v58                              // 000000007F94: 0B3C759E
	v_mul_f32_e32 v159, v159, v59                              // 000000007F98: 0B3E779F
	v_mul_f32_e32 v156, v156, v92                              // 000000007F9C: 0B38B99C
	v_mul_f32_e32 v157, v157, v93                              // 000000007FA0: 0B3ABB9D
	v_mul_f32_e32 v158, v158, v94                              // 000000007FA4: 0B3CBD9E
	v_mul_f32_e32 v159, v159, v95                              // 000000007FA8: 0B3EBF9F
	v_lshlrev_b32_e32 v56, 2, v0                               // 000000007FAC: 24700082
	s_mul_i32 s60, s82, s71                                    // 000000007FB0: 923C4752
	v_add_u32_e64 v80, v56, s60                                // 000000007FB4: D1340050 00007938
	v_mov_b32_e32 v81, 0                                       // 000000007FBC: 7EA20280
	s_mul_i32 s60, s83, s71                                    // 000000007FC0: 923C4753
	v_add_u32_e64 v82, v56, s60                                // 000000007FC4: D1340052 00007938
	v_mov_b32_e32 v83, 0                                       // 000000007FCC: 7EA60280
	s_mul_i32 s60, s84, s71                                    // 000000007FD0: 923C4754
	v_add_u32_e64 v84, v56, s60                                // 000000007FD4: D1340054 00007938
	v_mov_b32_e32 v85, 0                                       // 000000007FDC: 7EAA0280
	s_mul_i32 s60, s85, s71                                    // 000000007FE0: 923C4755
	v_add_u32_e64 v86, v56, s60                                // 000000007FE4: D1340056 00007938
	v_mov_b32_e32 v87, 0                                       // 000000007FEC: 7EAE0280
	s_mul_i32 s60, s86, s71                                    // 000000007FF0: 923C4756
	v_add_u32_e64 v88, v56, s60                                // 000000007FF4: D1340058 00007938
	v_mov_b32_e32 v89, 0                                       // 000000007FFC: 7EB20280
	s_mul_i32 s60, s87, s71                                    // 000000008000: 923C4757
	v_add_u32_e64 v90, v56, s60                                // 000000008004: D134005A 00007938
	v_mov_b32_e32 v91, 0                                       // 00000000800C: 7EB60280
	s_mul_i32 s60, s88, s71                                    // 000000008010: 923C4758
	v_add_u32_e64 v92, v56, s60                                // 000000008014: D134005C 00007938
	v_mov_b32_e32 v93, 0                                       // 00000000801C: 7EBA0280
	s_mul_i32 s60, s89, s71                                    // 000000008020: 923C4759
	v_add_u32_e64 v94, v56, s60                                // 000000008024: D134005E 00007938
	v_mov_b32_e32 v95, 0                                       // 00000000802C: 7EBE0280
	buffer_load_dword v23, v6, s[16:19], 0 offen               // 000000008030: E0501000 80041706
	v_mov_b32_e32 v28, 0x358637bd                              // 000000008038: 7E3802FF 358637BD
	v_mov_b32_e32 v29, 0x358637bd                              // 000000008040: 7E3A02FF 358637BD
	v_max3_f32 v28, |v128|, |v129|, v28                        // 000000008048: D1D3031C 04730380
	v_max3_f32 v28, |v130|, |v131|, v28                        // 000000008050: D1D3031C 04730782
	v_max3_f32 v29, |v132|, |v133|, v29                        // 000000008058: D1D3031D 04770B84
	v_max3_f32 v29, |v134|, |v135|, v29                        // 000000008060: D1D3031D 04770F86
	v_max3_f32 v28, |v136|, |v137|, v28                        // 000000008068: D1D3031C 04731388
	v_max3_f32 v28, |v138|, |v139|, v28                        // 000000008070: D1D3031C 0473178A
	v_max3_f32 v29, |v140|, |v141|, v29                        // 000000008078: D1D3031D 04771B8C
	v_max3_f32 v29, |v142|, |v143|, v29                        // 000000008080: D1D3031D 04771F8E
	v_lshlrev_b32_e32 v56, 3, v0                               // 000000008088: 24700083
	s_mul_i32 s60, 0x200, s7                                   // 00000000808C: 923C07FF 00000200
	v_add_u32_e32 v56, s60, v56                                // 000000008094: 6870703C
	ds_write_b64 v56, v[28:29] offset:18688                    // 000000008098: D89A4900 00001C38
	s_waitcnt lgkmcnt(0)                                       // 0000000080A0: BF8CC07F
	s_barrier                                                  // 0000000080A4: BF8A0000
	v_and_b32_e32 v56, 15, v0                                  // 0000000080A8: 2670008F
	v_lshlrev_b32_e32 v56, 3, v56                              // 0000000080AC: 24707083
	ds_read_b64 v[96:97], v56 offset:18688                     // 0000000080B0: D8EC4900 60000038
	ds_read_b64 v[98:99], v56 offset:18816                     // 0000000080B8: D8EC4980 62000038
	ds_read_b64 v[100:101], v56 offset:18944                   // 0000000080C0: D8EC4A00 64000038
	ds_read_b64 v[102:103], v56 offset:19072                   // 0000000080C8: D8EC4A80 66000038
	ds_read_b64 v[104:105], v56 offset:19200                   // 0000000080D0: D8EC4B00 68000038
	ds_read_b64 v[106:107], v56 offset:19328                   // 0000000080D8: D8EC4B80 6A000038
	ds_read_b64 v[108:109], v56 offset:19456                   // 0000000080E0: D8EC4C00 6C000038
	ds_read_b64 v[110:111], v56 offset:19584                   // 0000000080E8: D8EC4C80 6E000038
	ds_read_b64 v[112:113], v56 offset:19712                   // 0000000080F0: D8EC4D00 70000038
	ds_read_b64 v[114:115], v56 offset:19840                   // 0000000080F8: D8EC4D80 72000038
	ds_read_b64 v[116:117], v56 offset:19968                   // 000000008100: D8EC4E00 74000038
	ds_read_b64 v[118:119], v56 offset:20096                   // 000000008108: D8EC4E80 76000038
	ds_read_b64 v[120:121], v56 offset:20224                   // 000000008110: D8EC4F00 78000038
	ds_read_b64 v[122:123], v56 offset:20352                   // 000000008118: D8EC4F80 7A000038
	ds_read_b64 v[124:125], v56 offset:20480                   // 000000008120: D8EC5000 7C000038
	ds_read_b64 v[126:127], v56 offset:20608                   // 000000008128: D8EC5080 7E000038
	s_waitcnt lgkmcnt(0)                                       // 000000008130: BF8CC07F
	v_max3_f32 v28, |v96|, |v98|, v28                          // 000000008134: D1D3031C 0472C560
	v_max3_f32 v29, |v97|, |v99|, v29                          // 00000000813C: D1D3031D 0476C761
	v_max3_f32 v28, |v100|, |v102|, v28                        // 000000008144: D1D3031C 0472CD64
	v_max3_f32 v29, |v101|, |v103|, v29                        // 00000000814C: D1D3031D 0476CF65
	v_max3_f32 v28, |v104|, |v106|, v28                        // 000000008154: D1D3031C 0472D568
	v_max3_f32 v29, |v105|, |v107|, v29                        // 00000000815C: D1D3031D 0476D769
	v_max3_f32 v28, |v108|, |v110|, v28                        // 000000008164: D1D3031C 0472DD6C
	v_max3_f32 v29, |v109|, |v111|, v29                        // 00000000816C: D1D3031D 0476DF6D
	v_max3_f32 v28, |v112|, |v114|, v28                        // 000000008174: D1D3031C 0472E570
	v_max3_f32 v29, |v113|, |v115|, v29                        // 00000000817C: D1D3031D 0476E771
	v_max3_f32 v28, |v116|, |v118|, v28                        // 000000008184: D1D3031C 0472ED74
	v_max3_f32 v29, |v117|, |v119|, v29                        // 00000000818C: D1D3031D 0476EF75
	v_max3_f32 v28, |v120|, |v122|, v28                        // 000000008194: D1D3031C 0472F578
	v_max3_f32 v29, |v121|, |v123|, v29                        // 00000000819C: D1D3031D 0476F779
	v_max3_f32 v28, |v124|, |v126|, v28                        // 0000000081A4: D1D3031C 0472FD7C
	v_max3_f32 v29, |v125|, |v127|, v29                        // 0000000081AC: D1D3031D 0476FF7D
	v_rcp_f32_e32 v28, v28                                     // 0000000081B4: 7E38451C
	v_rcp_f32_e32 v29, v29                                     // 0000000081B8: 7E3A451D
	v_mov_b32_e32 v56, 0x43700000                              // 0000000081BC: 7E7002FF 43700000
	v_mul_f32_e32 v28, v56, v28                                // 0000000081C4: 0A383938
	v_mul_f32_e32 v29, v56, v29                                // 0000000081C8: 0A3A3B38
	v_mul_f32_e32 v128, v28, v128                              // 0000000081CC: 0B01011C
	v_mul_f32_e32 v129, v28, v129                              // 0000000081D0: 0B03031C
	v_mul_f32_e32 v130, v28, v130                              // 0000000081D4: 0B05051C
	v_mul_f32_e32 v131, v28, v131                              // 0000000081D8: 0B07071C
	v_cvt_pk_fp8_f32 v128, v128, v129                          // 0000000081DC: D2A20080 00030380
	v_cvt_pk_fp8_f32 v128, v130, v131 op_sel:[0,0,1]           // 0000000081E4: D2A24080 00030782
	v_mul_f32_e32 v132, v29, v132                              // 0000000081EC: 0B09091D
	v_mul_f32_e32 v133, v29, v133                              // 0000000081F0: 0B0B0B1D
	v_mul_f32_e32 v134, v29, v134                              // 0000000081F4: 0B0D0D1D
	v_mul_f32_e32 v135, v29, v135                              // 0000000081F8: 0B0F0F1D
	v_cvt_pk_fp8_f32 v129, v132, v133                          // 0000000081FC: D2A20081 00030B84
	v_cvt_pk_fp8_f32 v129, v134, v135 op_sel:[0,0,1]           // 000000008204: D2A24081 00030F86
	v_mul_f32_e32 v136, v28, v136                              // 00000000820C: 0B11111C
	v_mul_f32_e32 v137, v28, v137                              // 000000008210: 0B13131C
	v_mul_f32_e32 v138, v28, v138                              // 000000008214: 0B15151C
	v_mul_f32_e32 v139, v28, v139                              // 000000008218: 0B17171C
	v_cvt_pk_fp8_f32 v130, v136, v137                          // 00000000821C: D2A20082 00031388
	v_cvt_pk_fp8_f32 v130, v138, v139 op_sel:[0,0,1]           // 000000008224: D2A24082 0003178A
	v_mul_f32_e32 v140, v29, v140                              // 00000000822C: 0B19191D
	v_mul_f32_e32 v141, v29, v141                              // 000000008230: 0B1B1B1D
	v_mul_f32_e32 v142, v29, v142                              // 000000008234: 0B1D1D1D
	v_mul_f32_e32 v143, v29, v143                              // 000000008238: 0B1F1F1D
	v_cvt_pk_fp8_f32 v131, v140, v141                          // 00000000823C: D2A20083 00031B8C
	v_cvt_pk_fp8_f32 v131, v142, v143 op_sel:[0,0,1]           // 000000008244: D2A24083 00031F8E
	v_rcp_f32_e32 v32, v28                                     // 00000000824C: 7E40451C
	v_rcp_f32_e32 v33, v29                                     // 000000008250: 7E42451D
	v_mov_b32_e32 v30, 0x358637bd                              // 000000008254: 7E3C02FF 358637BD
	v_mov_b32_e32 v31, 0x358637bd                              // 00000000825C: 7E3E02FF 358637BD
	v_max3_f32 v30, |v144|, |v145|, v30                        // 000000008264: D1D3031E 047B2390
	v_max3_f32 v30, |v146|, |v147|, v30                        // 00000000826C: D1D3031E 047B2792
	v_max3_f32 v31, |v148|, |v149|, v31                        // 000000008274: D1D3031F 047F2B94
	v_max3_f32 v31, |v150|, |v151|, v31                        // 00000000827C: D1D3031F 047F2F96
	v_max3_f32 v30, |v152|, |v153|, v30                        // 000000008284: D1D3031E 047B3398
	v_max3_f32 v30, |v154|, |v155|, v30                        // 00000000828C: D1D3031E 047B379A
	v_max3_f32 v31, |v156|, |v157|, v31                        // 000000008294: D1D3031F 047F3B9C
	v_max3_f32 v31, |v158|, |v159|, v31                        // 00000000829C: D1D3031F 047F3F9E
	v_lshlrev_b32_e32 v56, 3, v0                               // 0000000082A4: 24700083
	s_mul_i32 s60, 0x200, s7                                   // 0000000082A8: 923C07FF 00000200
	v_add_u32_e32 v56, s60, v56                                // 0000000082B0: 6870703C
	ds_write_b64 v56, v[30:31] offset:18688                    // 0000000082B4: D89A4900 00001E38
	s_waitcnt lgkmcnt(0)                                       // 0000000082BC: BF8CC07F
	s_barrier                                                  // 0000000082C0: BF8A0000
	v_and_b32_e32 v56, 15, v0                                  // 0000000082C4: 2670008F
	v_lshlrev_b32_e32 v56, 3, v56                              // 0000000082C8: 24707083
	ds_read_b64 v[96:97], v56 offset:18688                     // 0000000082CC: D8EC4900 60000038
	ds_read_b64 v[98:99], v56 offset:18816                     // 0000000082D4: D8EC4980 62000038
	ds_read_b64 v[100:101], v56 offset:18944                   // 0000000082DC: D8EC4A00 64000038
	ds_read_b64 v[102:103], v56 offset:19072                   // 0000000082E4: D8EC4A80 66000038
	ds_read_b64 v[104:105], v56 offset:19200                   // 0000000082EC: D8EC4B00 68000038
	ds_read_b64 v[106:107], v56 offset:19328                   // 0000000082F4: D8EC4B80 6A000038
	ds_read_b64 v[108:109], v56 offset:19456                   // 0000000082FC: D8EC4C00 6C000038
	ds_read_b64 v[110:111], v56 offset:19584                   // 000000008304: D8EC4C80 6E000038
	ds_read_b64 v[112:113], v56 offset:19712                   // 00000000830C: D8EC4D00 70000038
	ds_read_b64 v[114:115], v56 offset:19840                   // 000000008314: D8EC4D80 72000038
	ds_read_b64 v[116:117], v56 offset:19968                   // 00000000831C: D8EC4E00 74000038
	ds_read_b64 v[118:119], v56 offset:20096                   // 000000008324: D8EC4E80 76000038
	ds_read_b64 v[120:121], v56 offset:20224                   // 00000000832C: D8EC4F00 78000038
	ds_read_b64 v[122:123], v56 offset:20352                   // 000000008334: D8EC4F80 7A000038
	ds_read_b64 v[124:125], v56 offset:20480                   // 00000000833C: D8EC5000 7C000038
	ds_read_b64 v[126:127], v56 offset:20608                   // 000000008344: D8EC5080 7E000038
	s_waitcnt lgkmcnt(0)                                       // 00000000834C: BF8CC07F
	v_max3_f32 v30, |v96|, |v98|, v30                          // 000000008350: D1D3031E 047AC560
	v_max3_f32 v31, |v97|, |v99|, v31                          // 000000008358: D1D3031F 047EC761
	v_max3_f32 v30, |v100|, |v102|, v30                        // 000000008360: D1D3031E 047ACD64
	v_max3_f32 v31, |v101|, |v103|, v31                        // 000000008368: D1D3031F 047ECF65
	v_max3_f32 v30, |v104|, |v106|, v30                        // 000000008370: D1D3031E 047AD568
	v_max3_f32 v31, |v105|, |v107|, v31                        // 000000008378: D1D3031F 047ED769
	v_max3_f32 v30, |v108|, |v110|, v30                        // 000000008380: D1D3031E 047ADD6C
	v_max3_f32 v31, |v109|, |v111|, v31                        // 000000008388: D1D3031F 047EDF6D
	v_max3_f32 v30, |v112|, |v114|, v30                        // 000000008390: D1D3031E 047AE570
	v_max3_f32 v31, |v113|, |v115|, v31                        // 000000008398: D1D3031F 047EE771
	v_max3_f32 v30, |v116|, |v118|, v30                        // 0000000083A0: D1D3031E 047AED74
	v_max3_f32 v31, |v117|, |v119|, v31                        // 0000000083A8: D1D3031F 047EEF75
	v_max3_f32 v30, |v120|, |v122|, v30                        // 0000000083B0: D1D3031E 047AF578
	v_max3_f32 v31, |v121|, |v123|, v31                        // 0000000083B8: D1D3031F 047EF779
	v_max3_f32 v30, |v124|, |v126|, v30                        // 0000000083C0: D1D3031E 047AFD7C
	v_max3_f32 v31, |v125|, |v127|, v31                        // 0000000083C8: D1D3031F 047EFF7D
	v_rcp_f32_e32 v30, v30                                     // 0000000083D0: 7E3C451E
	v_rcp_f32_e32 v31, v31                                     // 0000000083D4: 7E3E451F
	v_mov_b32_e32 v56, 0x43700000                              // 0000000083D8: 7E7002FF 43700000
	v_mul_f32_e32 v30, v56, v30                                // 0000000083E0: 0A3C3D38
	v_mul_f32_e32 v31, v56, v31                                // 0000000083E4: 0A3E3F38
	v_mul_f32_e32 v144, v30, v144                              // 0000000083E8: 0B21211E
	v_mul_f32_e32 v145, v30, v145                              // 0000000083EC: 0B23231E
	v_mul_f32_e32 v146, v30, v146                              // 0000000083F0: 0B25251E
	v_mul_f32_e32 v147, v30, v147                              // 0000000083F4: 0B27271E
	v_cvt_pk_fp8_f32 v132, v144, v145                          // 0000000083F8: D2A20084 00032390
	v_cvt_pk_fp8_f32 v132, v146, v147 op_sel:[0,0,1]           // 000000008400: D2A24084 00032792
	v_mul_f32_e32 v148, v31, v148                              // 000000008408: 0B29291F
	v_mul_f32_e32 v149, v31, v149                              // 00000000840C: 0B2B2B1F
	v_mul_f32_e32 v150, v31, v150                              // 000000008410: 0B2D2D1F
	v_mul_f32_e32 v151, v31, v151                              // 000000008414: 0B2F2F1F
	v_cvt_pk_fp8_f32 v133, v148, v149                          // 000000008418: D2A20085 00032B94
	v_cvt_pk_fp8_f32 v133, v150, v151 op_sel:[0,0,1]           // 000000008420: D2A24085 00032F96
	v_mul_f32_e32 v152, v30, v152                              // 000000008428: 0B31311E
	v_mul_f32_e32 v153, v30, v153                              // 00000000842C: 0B33331E
	v_mul_f32_e32 v154, v30, v154                              // 000000008430: 0B35351E
	v_mul_f32_e32 v155, v30, v155                              // 000000008434: 0B37371E
	v_cvt_pk_fp8_f32 v134, v152, v153                          // 000000008438: D2A20086 00033398
	v_cvt_pk_fp8_f32 v134, v154, v155 op_sel:[0,0,1]           // 000000008440: D2A24086 0003379A
	v_mul_f32_e32 v156, v31, v156                              // 000000008448: 0B39391F
	v_mul_f32_e32 v157, v31, v157                              // 00000000844C: 0B3B3B1F
	v_mul_f32_e32 v158, v31, v158                              // 000000008450: 0B3D3D1F
	v_mul_f32_e32 v159, v31, v159                              // 000000008454: 0B3F3F1F
	v_cvt_pk_fp8_f32 v135, v156, v157                          // 000000008458: D2A20087 00033B9C
	v_cvt_pk_fp8_f32 v135, v158, v159 op_sel:[0,0,1]           // 000000008460: D2A24087 00033F9E
	v_rcp_f32_e32 v34, v30                                     // 000000008468: 7E44451E
	v_rcp_f32_e32 v35, v31                                     // 00000000846C: 7E46451F
	v_lshrrev_b32_e32 v56, 5, v0                               // 000000008470: 20700085
	v_lshlrev_b32_e32 v57, 5, v56                              // 000000008474: 24727085
	v_and_b32_e32 v56, 31, v0                                  // 000000008478: 2670009F
	v_lshrrev_b32_e32 v58, 4, v56                              // 00000000847C: 20747084
	v_add_u32_e32 v57, v58, v57                                // 000000008480: 6872733A
	v_and_b32_e32 v56, 15, v0                                  // 000000008484: 2670008F
	v_lshlrev_b32_e32 v56, 1, v56                              // 000000008488: 24707081
	v_add_u32_e32 v57, v56, v57                                // 00000000848C: 68727338
	v_lshlrev_b32_e32 v56, 2, v57                              // 000000008490: 24707282
	s_mul_i32 s60, 0x100, s7                                   // 000000008494: 923C07FF 00000100
	v_add_u32_e64 v56, v56, s60                                // 00000000849C: D1340038 00007938
	ds_write_b32 v56, v128 offset:20736                        // 0000000084A4: D81A5100 00008038
	ds_write_b32 v56, v129 offset:24832                        // 0000000084AC: D81A6100 00008138
	ds_write_b32 v56, v130 offset:21760                        // 0000000084B4: D81A5500 00008238
	ds_write_b32 v56, v131 offset:25856                        // 0000000084BC: D81A6500 00008338
	ds_write_b32 v56, v132 offset:22784                        // 0000000084C4: D81A5900 00008438
	ds_write_b32 v56, v133 offset:26880                        // 0000000084CC: D81A6900 00008538
	ds_write_b32 v56, v134 offset:23808                        // 0000000084D4: D81A5D00 00008638
	ds_write_b32 v56, v135 offset:27904                        // 0000000084DC: D81A6D00 00008738
	s_waitcnt lgkmcnt(0)                                       // 0000000084E4: BF8CC07F
	s_barrier                                                  // 0000000084E8: BF8A0000
	v_lshrrev_b32_e32 v56, 4, v0                               // 0000000084EC: 20700084
	v_lshlrev_b32_e32 v57, 6, v56                              // 0000000084F0: 24727086
	v_and_b32_e32 v56, 15, v0                                  // 0000000084F4: 2670008F
	v_lshlrev_b32_e32 v56, 1, v56                              // 0000000084F8: 24707081
	v_add_u32_e32 v57, v56, v57                                // 0000000084FC: 68727338
	v_lshlrev_b32_e32 v56, 2, v57                              // 000000008500: 24707282
	ds_read_b64 v[128:129], v56 offset:20736                   // 000000008504: D8EC5100 80000038
	ds_read_b64 v[130:131], v56 offset:20864                   // 00000000850C: D8EC5180 82000038
	ds_read_b64 v[132:133], v56 offset:21760                   // 000000008514: D8EC5500 84000038
	ds_read_b64 v[134:135], v56 offset:21888                   // 00000000851C: D8EC5580 86000038
	ds_read_b64 v[136:137], v56 offset:22784                   // 000000008524: D8EC5900 88000038
	ds_read_b64 v[138:139], v56 offset:22912                   // 00000000852C: D8EC5980 8A000038
	ds_read_b64 v[140:141], v56 offset:23808                   // 000000008534: D8EC5D00 8C000038
	ds_read_b64 v[142:143], v56 offset:23936                   // 00000000853C: D8EC5D80 8E000038
	ds_read_b64 v[144:145], v56 offset:24832                   // 000000008544: D8EC6100 90000038
	ds_read_b64 v[146:147], v56 offset:24960                   // 00000000854C: D8EC6180 92000038
	ds_read_b64 v[148:149], v56 offset:25856                   // 000000008554: D8EC6500 94000038
	ds_read_b64 v[150:151], v56 offset:25984                   // 00000000855C: D8EC6580 96000038
	ds_read_b64 v[152:153], v56 offset:26880                   // 000000008564: D8EC6900 98000038
	ds_read_b64 v[154:155], v56 offset:27008                   // 00000000856C: D8EC6980 9A000038
	ds_read_b64 v[156:157], v56 offset:27904                   // 000000008574: D8EC6D00 9C000038
	ds_read_b64 v[158:159], v56 offset:28032                   // 00000000857C: D8EC6D80 9E000038
	s_add_u32 s12, s56, s12                                    // 000000008584: 800C0C38
	s_addc_u32 s13, 0, s13                                     // 000000008588: 820D0D80
	s_add_u32 s16, s79, s16                                    // 00000000858C: 8010104F
	s_addc_u32 s17, 0, s17                                     // 000000008590: 82111180
	s_waitcnt lgkmcnt(0)                                       // 000000008594: BF8CC07F
	s_barrier                                                  // 000000008598: BF8A0000
	v_mov_b32_e32 v192, 0                                      // 00000000859C: 7F800280
	v_mov_b32_e32 v224, 0                                      // 0000000085A0: 7FC00280
	v_mov_b32_e32 v193, 0                                      // 0000000085A4: 7F820280
	v_mov_b32_e32 v225, 0                                      // 0000000085A8: 7FC20280
	v_mov_b32_e32 v194, 0                                      // 0000000085AC: 7F840280
	v_mov_b32_e32 v226, 0                                      // 0000000085B0: 7FC40280
	v_mov_b32_e32 v195, 0                                      // 0000000085B4: 7F860280
	v_mov_b32_e32 v227, 0                                      // 0000000085B8: 7FC60280
	v_mov_b32_e32 v196, 0                                      // 0000000085BC: 7F880280
	v_mov_b32_e32 v228, 0                                      // 0000000085C0: 7FC80280
	v_mov_b32_e32 v197, 0                                      // 0000000085C4: 7F8A0280
	v_mov_b32_e32 v229, 0                                      // 0000000085C8: 7FCA0280
	v_mov_b32_e32 v198, 0                                      // 0000000085CC: 7F8C0280
	v_mov_b32_e32 v230, 0                                      // 0000000085D0: 7FCC0280
	v_mov_b32_e32 v199, 0                                      // 0000000085D4: 7F8E0280
	v_mov_b32_e32 v231, 0                                      // 0000000085D8: 7FCE0280
	v_mov_b32_e32 v200, 0                                      // 0000000085DC: 7F900280
	v_mov_b32_e32 v232, 0                                      // 0000000085E0: 7FD00280
	v_mov_b32_e32 v201, 0                                      // 0000000085E4: 7F920280
	v_mov_b32_e32 v233, 0                                      // 0000000085E8: 7FD20280
	v_mov_b32_e32 v202, 0                                      // 0000000085EC: 7F940280
	v_mov_b32_e32 v234, 0                                      // 0000000085F0: 7FD40280
	v_mov_b32_e32 v203, 0                                      // 0000000085F4: 7F960280
	v_mov_b32_e32 v235, 0                                      // 0000000085F8: 7FD60280
	v_mov_b32_e32 v204, 0                                      // 0000000085FC: 7F980280
	v_mov_b32_e32 v236, 0                                      // 000000008600: 7FD80280
	v_mov_b32_e32 v205, 0                                      // 000000008604: 7F9A0280
	v_mov_b32_e32 v237, 0                                      // 000000008608: 7FDA0280
	v_mov_b32_e32 v206, 0                                      // 00000000860C: 7F9C0280
	v_mov_b32_e32 v238, 0                                      // 000000008610: 7FDC0280
	v_mov_b32_e32 v207, 0                                      // 000000008614: 7F9E0280
	v_mov_b32_e32 v239, 0                                      // 000000008618: 7FDE0280
	ds_write_b64 v4, v[192:193] offset:20736                   // 00000000861C: D89A5100 0000C004
	ds_write_b64 v4, v[194:195] offset:29440                   // 000000008624: D89A7300 0000C204
	ds_write_b64 v4, v[196:197] offset:22912                   // 00000000862C: D89A5980 0000C404
	ds_write_b64 v4, v[198:199] offset:31616                   // 000000008634: D89A7B80 0000C604
	ds_write_b64 v4, v[200:201] offset:25088                   // 00000000863C: D89A6200 0000C804
	ds_write_b64 v4, v[202:203] offset:33792                   // 000000008644: D89A8400 0000CA04
	ds_write_b64 v4, v[204:205] offset:27264                   // 00000000864C: D89A6A80 0000CC04
	ds_write_b64 v4, v[206:207] offset:35968                   // 000000008654: D89A8C80 0000CE04
	s_mov_b32 s80, 0                                           // 00000000865C: BED00080
	s_waitcnt vmcnt(0) expcnt(0) lgkmcnt(0)                    // 000000008660: BF8C0000

0000000000008664 <label_16D9>:
	s_waitcnt vmcnt(28) lgkmcnt(0)                             // 000000008664: BF8C407C
	s_barrier                                                  // 000000008668: BF8A0000
	v_mfma_f32_16x16x32_fp8_fp8 v[192:195], a[0:1], v[128:129], 0// 00000000866C: D3F300C0 0A030100
	buffer_load_dwordx4 a[64:67], v48, s[12:15], 0 offen       // 000000008674: E05C1000 80834030
	v_mfma_f32_16x16x32_fp8_fp8 v[192:195], a[2:3], v[130:131], v[192:195]// 00000000867C: D3F300C0 0F030502
	ds_read_b32 v64, v5 offset:20736                           // 000000008684: D86C5100 40000005
	ds_read_b32 v65, v5 offset:25088                           // 00000000868C: D86C6200 41000005
	v_mfma_f32_16x16x32_fp8_fp8 v[196:199], a[0:1], v[144:145], 0// 000000008694: D3F300C4 0A032100
	buffer_load_dword v24, v6, s[16:19], 0 offen               // 00000000869C: E0501000 80041806
	v_mfma_f32_16x16x32_fp8_fp8 v[196:199], a[2:3], v[146:147], v[196:199]// 0000000086A4: D3F300C4 0F132502
	ds_read_b32 v66, v5 offset:20768                           // 0000000086AC: D86C5120 42000005
	ds_read_b32 v67, v5 offset:25120                           // 0000000086B4: D86C6220 43000005
	v_mfma_f32_16x16x32_fp8_fp8 v[200:203], a[4:5], v[128:129], 0// 0000000086BC: D3F300C8 0A030104
	buffer_load_dwordx4 a[68:71], v49, s[12:15], 0 offen       // 0000000086C4: E05C1000 80834431
	v_mfma_f32_16x16x32_fp8_fp8 v[200:203], a[6:7], v[130:131], v[200:203]// 0000000086CC: D3F300C8 0F230506
	ds_read_b32 v68, v5 offset:20800                           // 0000000086D4: D86C5140 44000005
	ds_read_b32 v69, v5 offset:25152                           // 0000000086DC: D86C6240 45000005
	v_mfma_f32_16x16x32_fp8_fp8 v[204:207], a[4:5], v[144:145], 0// 0000000086E4: D3F300CC 0A032104
	v_mfma_f32_16x16x32_fp8_fp8 v[204:207], a[6:7], v[146:147], v[204:207]// 0000000086EC: D3F300CC 0F332506
	ds_read_b32 v70, v5 offset:20832                           // 0000000086F4: D86C5160 46000005
	ds_read_b32 v71, v5 offset:25184                           // 0000000086FC: D86C6260 47000005
	v_mfma_f32_16x16x32_fp8_fp8 v[208:211], a[8:9], v[128:129], 0// 000000008704: D3F300D0 0A030108
	buffer_load_dwordx4 a[72:75], v50, s[12:15], 0 offen       // 00000000870C: E05C1000 80834832
	v_mfma_f32_16x16x32_fp8_fp8 v[208:211], a[10:11], v[130:131], v[208:211]// 000000008714: D3F300D0 0F43050A
	ds_read_b32 v72, v5 offset:29440                           // 00000000871C: D86C7300 48000005
	ds_read_b32 v73, v5 offset:33792                           // 000000008724: D86C8400 49000005
	v_mfma_f32_16x16x32_fp8_fp8 v[212:215], a[8:9], v[144:145], 0// 00000000872C: D3F300D4 0A032108
	v_mfma_f32_16x16x32_fp8_fp8 v[212:215], a[10:11], v[146:147], v[212:215]// 000000008734: D3F300D4 0F53250A
	ds_read_b32 v74, v5 offset:29472                           // 00000000873C: D86C7320 4A000005
	ds_read_b32 v75, v5 offset:33824                           // 000000008744: D86C8420 4B000005
	v_mfma_f32_16x16x32_fp8_fp8 v[216:219], a[12:13], v[128:129], 0// 00000000874C: D3F300D8 0A03010C
	buffer_load_dwordx4 a[76:79], v51, s[12:15], 0 offen       // 000000008754: E05C1000 80834C33
	s_add_u32 s12, s78, s12                                    // 00000000875C: 800C0C4E
	s_addc_u32 s13, 0, s13                                     // 000000008760: 820D0D80
	v_mfma_f32_16x16x32_fp8_fp8 v[216:219], a[14:15], v[130:131], v[216:219]// 000000008764: D3F300D8 0F63050E
	ds_read_b32 v76, v5 offset:29504                           // 00000000876C: D86C7340 4C000005
	ds_read_b32 v77, v5 offset:33856                           // 000000008774: D86C8440 4D000005
	v_mfma_f32_16x16x32_fp8_fp8 v[220:223], a[12:13], v[144:145], 0// 00000000877C: D3F300DC 0A03210C
	v_mfma_f32_16x16x32_fp8_fp8 v[220:223], a[14:15], v[146:147], v[220:223]// 000000008784: D3F300DC 0F73250E
	ds_read_b32 v78, v5 offset:29536                           // 00000000878C: D86C7360 4E000005
	ds_read_b32 v79, v5 offset:33888                           // 000000008794: D86C8460 4F000005
	s_waitcnt vmcnt(29)                                        // 00000000879C: BF8C4F7D
	v_mfma_f32_16x16x32_fp8_fp8 v[192:195], a[16:17], v[132:133], v[192:195]// 0000000087A0: D3F300C0 0F030910
	buffer_load_dwordx4 a[80:83], v48, s[12:15], 0 offen       // 0000000087A8: E05C1000 80835030
	v_mfma_f32_16x16x32_fp8_fp8 v[192:195], a[18:19], v[134:135], v[192:195]// 0000000087B0: D3F300C0 0F030D12
	v_mfma_f32_16x16x32_fp8_fp8 v[196:199], a[16:17], v[148:149], v[196:199]// 0000000087B8: D3F300C4 0F132910
	v_mfma_f32_16x16x32_fp8_fp8 v[196:199], a[18:19], v[150:151], v[196:199]// 0000000087C0: D3F300C4 0F132D12
	v_mfma_f32_16x16x32_fp8_fp8 v[200:203], a[20:21], v[132:133], v[200:203]// 0000000087C8: D3F300C8 0F230914
	buffer_load_dwordx4 a[84:87], v49, s[12:15], 0 offen       // 0000000087D0: E05C1000 80835431
	v_mfma_f32_16x16x32_fp8_fp8 v[200:203], a[22:23], v[134:135], v[200:203]// 0000000087D8: D3F300C8 0F230D16
	v_mfma_f32_16x16x32_fp8_fp8 v[204:207], a[20:21], v[148:149], v[204:207]// 0000000087E0: D3F300CC 0F332914
	v_mfma_f32_16x16x32_fp8_fp8 v[204:207], a[22:23], v[150:151], v[204:207]// 0000000087E8: D3F300CC 0F332D16
	v_mfma_f32_16x16x32_fp8_fp8 v[208:211], a[24:25], v[132:133], v[208:211]// 0000000087F0: D3F300D0 0F430918
	buffer_load_dwordx4 a[88:91], v50, s[12:15], 0 offen       // 0000000087F8: E05C1000 80835832
	v_mfma_f32_16x16x32_fp8_fp8 v[208:211], a[26:27], v[134:135], v[208:211]// 000000008800: D3F300D0 0F430D1A
	v_mfma_f32_16x16x32_fp8_fp8 v[212:215], a[24:25], v[148:149], v[212:215]// 000000008808: D3F300D4 0F532918
	v_mfma_f32_16x16x32_fp8_fp8 v[212:215], a[26:27], v[150:151], v[212:215]// 000000008810: D3F300D4 0F532D1A
	v_mfma_f32_16x16x32_fp8_fp8 v[216:219], a[28:29], v[132:133], v[216:219]// 000000008818: D3F300D8 0F63091C
	buffer_load_dwordx4 a[92:95], v51, s[12:15], 0 offen       // 000000008820: E05C1000 80835C33
	s_add_u32 s12, s78, s12                                    // 000000008828: 800C0C4E
	s_addc_u32 s13, 0, s13                                     // 00000000882C: 820D0D80
	v_mfma_f32_16x16x32_fp8_fp8 v[216:219], a[30:31], v[134:135], v[216:219]// 000000008830: D3F300D8 0F630D1E
	v_mfma_f32_16x16x32_fp8_fp8 v[220:223], a[28:29], v[148:149], v[220:223]// 000000008838: D3F300DC 0F73291C
	v_mfma_f32_16x16x32_fp8_fp8 v[220:223], a[30:31], v[150:151], v[220:223]// 000000008840: D3F300DC 0F732D1E
	v_mul_f32_dpp v56, v23, v32 row_newbcast:0 row_mask:0xf bank_mask:0xf// 000000008848: 0A7040FA FF015017
	v_mov_b32_e32 v57, v56                                     // 000000008850: 7E720338
	v_pk_mul_f32 v[192:193], v[56:57], v[192:193]              // 000000008854: D3B140C0 18038138
	v_pk_mul_f32 v[194:195], v[56:57], v[194:195]              // 00000000885C: D3B140C2 18038538
	v_pk_mul_f32 v[200:201], v[56:57], v[200:201]              // 000000008864: D3B140C8 18039138
	v_pk_mul_f32 v[202:203], v[56:57], v[202:203]              // 00000000886C: D3B140CA 18039538
	v_mul_f32_dpp v56, v23, v32 row_newbcast:1 row_mask:0xf bank_mask:0xf// 000000008874: 0A7040FA FF015117
	v_mov_b32_e32 v57, v56                                     // 00000000887C: 7E720338
	v_pk_mul_f32 v[208:209], v[56:57], v[208:209]              // 000000008880: D3B140D0 1803A138
	v_pk_mul_f32 v[210:211], v[56:57], v[210:211]              // 000000008888: D3B140D2 1803A538
	v_pk_mul_f32 v[216:217], v[56:57], v[216:217]              // 000000008890: D3B140D8 1803B138
	v_pk_mul_f32 v[218:219], v[56:57], v[218:219]              // 000000008898: D3B140DA 1803B538
	v_mul_f32_dpp v56, v23, v33 row_newbcast:0 row_mask:0xf bank_mask:0xf// 0000000088A0: 0A7042FA FF015017
	v_mov_b32_e32 v57, v56                                     // 0000000088A8: 7E720338
	v_pk_mul_f32 v[196:197], v[56:57], v[196:197]              // 0000000088AC: D3B140C4 18038938
	v_pk_mul_f32 v[198:199], v[56:57], v[198:199]              // 0000000088B4: D3B140C6 18038D38
	v_pk_mul_f32 v[204:205], v[56:57], v[204:205]              // 0000000088BC: D3B140CC 18039938
	v_pk_mul_f32 v[206:207], v[56:57], v[206:207]              // 0000000088C4: D3B140CE 18039D38
	v_mul_f32_dpp v56, v23, v33 row_newbcast:1 row_mask:0xf bank_mask:0xf// 0000000088CC: 0A7042FA FF015117
	v_mov_b32_e32 v57, v56                                     // 0000000088D4: 7E720338
	v_pk_mul_f32 v[212:213], v[56:57], v[212:213]              // 0000000088D8: D3B140D4 1803A938
	v_pk_mul_f32 v[214:215], v[56:57], v[214:215]              // 0000000088E0: D3B140D6 1803AD38
	v_pk_mul_f32 v[220:221], v[56:57], v[220:221]              // 0000000088E8: D3B140DC 1803B938
	v_pk_mul_f32 v[222:223], v[56:57], v[222:223]              // 0000000088F0: D3B140DE 1803BD38
	s_waitcnt vmcnt(29)                                        // 0000000088F8: BF8C4F7D
	v_mfma_f32_16x16x32_fp8_fp8 v[160:163], a[32:33], v[136:137], 0// 0000000088FC: D3F300A0 0A031120
	buffer_load_dwordx4 a[96:99], v48, s[12:15], 0 offen       // 000000008904: E05C1000 80836030
	v_mfma_f32_16x16x32_fp8_fp8 v[160:163], a[34:35], v[138:139], v[160:163]// 00000000890C: D3F300A0 0E831522
	ds_write_b64 v4, v[224:225] offset:38144                   // 000000008914: D89A9500 0000E004
	v_mfma_f32_16x16x32_fp8_fp8 v[164:167], a[32:33], v[152:153], 0// 00000000891C: D3F300A4 0A033120
	v_mfma_f32_16x16x32_fp8_fp8 v[164:167], a[34:35], v[154:155], v[164:167]// 000000008924: D3F300A4 0E933522
	ds_write_b64 v4, v[226:227] offset:46848                   // 00000000892C: D89AB700 0000E204
	v_mfma_f32_16x16x32_fp8_fp8 v[168:171], a[36:37], v[136:137], 0// 000000008934: D3F300A8 0A031124
	buffer_load_dwordx4 a[100:103], v49, s[12:15], 0 offen     // 00000000893C: E05C1000 80836431
	v_mfma_f32_16x16x32_fp8_fp8 v[168:171], a[38:39], v[138:139], v[168:171]// 000000008944: D3F300A8 0EA31526
	ds_write_b64 v4, v[228:229] offset:40320                   // 00000000894C: D89A9D80 0000E404
	v_mfma_f32_16x16x32_fp8_fp8 v[172:175], a[36:37], v[152:153], 0// 000000008954: D3F300AC 0A033124
	v_mfma_f32_16x16x32_fp8_fp8 v[172:175], a[38:39], v[154:155], v[172:175]// 00000000895C: D3F300AC 0EB33526
	ds_write_b64 v4, v[230:231] offset:49024                   // 000000008964: D89ABF80 0000E604
	v_mfma_f32_16x16x32_fp8_fp8 v[176:179], a[40:41], v[136:137], 0// 00000000896C: D3F300B0 0A031128
	buffer_load_dwordx4 a[104:107], v50, s[12:15], 0 offen     // 000000008974: E05C1000 80836832
	v_mfma_f32_16x16x32_fp8_fp8 v[176:179], a[42:43], v[138:139], v[176:179]// 00000000897C: D3F300B0 0EC3152A
	ds_write_b64 v4, v[232:233] offset:42496                   // 000000008984: D89AA600 0000E804
	v_mfma_f32_16x16x32_fp8_fp8 v[180:183], a[40:41], v[152:153], 0// 00000000898C: D3F300B4 0A033128
	v_mfma_f32_16x16x32_fp8_fp8 v[180:183], a[42:43], v[154:155], v[180:183]// 000000008994: D3F300B4 0ED3352A
	ds_write_b64 v4, v[234:235] offset:51200                   // 00000000899C: D89AC800 0000EA04
	v_mfma_f32_16x16x32_fp8_fp8 v[184:187], a[44:45], v[136:137], 0// 0000000089A4: D3F300B8 0A03112C
	buffer_load_dwordx4 a[108:111], v51, s[12:15], 0 offen     // 0000000089AC: E05C1000 80836C33
	s_add_u32 s12, s78, s12                                    // 0000000089B4: 800C0C4E
	s_addc_u32 s13, 0, s13                                     // 0000000089B8: 820D0D80
	v_mfma_f32_16x16x32_fp8_fp8 v[184:187], a[46:47], v[138:139], v[184:187]// 0000000089BC: D3F300B8 0EE3152E
	ds_write_b64 v4, v[236:237] offset:44672                   // 0000000089C4: D89AAE80 0000EC04
	v_mfma_f32_16x16x32_fp8_fp8 v[188:191], a[44:45], v[152:153], 0// 0000000089CC: D3F300BC 0A03312C
	v_mfma_f32_16x16x32_fp8_fp8 v[188:191], a[46:47], v[154:155], v[188:191]// 0000000089D4: D3F300BC 0EF3352E
	ds_write_b64 v4, v[238:239] offset:53376                   // 0000000089DC: D89AD080 0000EE04
	s_waitcnt vmcnt(29)                                        // 0000000089E4: BF8C4F7D
	v_mfma_f32_16x16x32_fp8_fp8 v[160:163], a[48:49], v[140:141], v[160:163]// 0000000089E8: D3F300A0 0E831930
	buffer_load_dwordx4 a[112:115], v48, s[12:15], 0 offen     // 0000000089F0: E05C1000 80837030
	v_mfma_f32_16x16x32_fp8_fp8 v[160:163], a[50:51], v[142:143], v[160:163]// 0000000089F8: D3F300A0 0E831D32
	v_mfma_f32_16x16x32_fp8_fp8 v[164:167], a[48:49], v[156:157], v[164:167]// 000000008A00: D3F300A4 0E933930
	v_mfma_f32_16x16x32_fp8_fp8 v[164:167], a[50:51], v[158:159], v[164:167]// 000000008A08: D3F300A4 0E933D32
	v_mfma_f32_16x16x32_fp8_fp8 v[168:171], a[52:53], v[140:141], v[168:171]// 000000008A10: D3F300A8 0EA31934
	buffer_load_dwordx4 a[116:119], v49, s[12:15], 0 offen     // 000000008A18: E05C1000 80837431
	v_mfma_f32_16x16x32_fp8_fp8 v[168:171], a[54:55], v[142:143], v[168:171]// 000000008A20: D3F300A8 0EA31D36
	v_mfma_f32_16x16x32_fp8_fp8 v[172:175], a[52:53], v[156:157], v[172:175]// 000000008A28: D3F300AC 0EB33934
	v_mfma_f32_16x16x32_fp8_fp8 v[172:175], a[54:55], v[158:159], v[172:175]// 000000008A30: D3F300AC 0EB33D36
	v_mfma_f32_16x16x32_fp8_fp8 v[176:179], a[56:57], v[140:141], v[176:179]// 000000008A38: D3F300B0 0EC31938
	buffer_load_dwordx4 a[120:123], v50, s[12:15], 0 offen     // 000000008A40: E05C1000 80837832
	v_mfma_f32_16x16x32_fp8_fp8 v[176:179], a[58:59], v[142:143], v[176:179]// 000000008A48: D3F300B0 0EC31D3A
	v_mfma_f32_16x16x32_fp8_fp8 v[180:183], a[56:57], v[156:157], v[180:183]// 000000008A50: D3F300B4 0ED33938
	v_mfma_f32_16x16x32_fp8_fp8 v[180:183], a[58:59], v[158:159], v[180:183]// 000000008A58: D3F300B4 0ED33D3A
	v_mfma_f32_16x16x32_fp8_fp8 v[184:187], a[60:61], v[140:141], v[184:187]// 000000008A60: D3F300B8 0EE3193C
	buffer_load_dwordx4 a[124:127], v51, s[12:15], 0 offen     // 000000008A68: E05C1000 80837C33
	v_mfma_f32_16x16x32_fp8_fp8 v[184:187], a[62:63], v[142:143], v[184:187]// 000000008A70: D3F300B8 0EE31D3E
	v_mfma_f32_16x16x32_fp8_fp8 v[188:191], a[60:61], v[156:157], v[188:191]// 000000008A78: D3F300BC 0EF3393C
	v_mfma_f32_16x16x32_fp8_fp8 v[188:191], a[62:63], v[158:159], v[188:191]// 000000008A80: D3F300BC 0EF33D3E
	v_mul_f32_dpp v56, v23, v34 row_newbcast:2 row_mask:0xf bank_mask:0xf// 000000008A88: 0A7044FA FF015217
	v_mov_b32_e32 v57, v56                                     // 000000008A90: 7E720338
	v_pk_fma_f32 v[192:193], v[160:161], v[56:57], v[192:193]  // 000000008A94: D3B040C0 1F0271A0
	v_pk_fma_f32 v[194:195], v[162:163], v[56:57], v[194:195]  // 000000008A9C: D3B040C2 1F0A71A2
	v_pk_fma_f32 v[200:201], v[168:169], v[56:57], v[200:201]  // 000000008AA4: D3B040C8 1F2271A8
	v_pk_fma_f32 v[202:203], v[170:171], v[56:57], v[202:203]  // 000000008AAC: D3B040CA 1F2A71AA
	v_mul_f32_dpp v56, v23, v34 row_newbcast:3 row_mask:0xf bank_mask:0xf// 000000008AB4: 0A7044FA FF015317
	v_mov_b32_e32 v57, v56                                     // 000000008ABC: 7E720338
	v_pk_fma_f32 v[208:209], v[176:177], v[56:57], v[208:209]  // 000000008AC0: D3B040D0 1F4271B0
	v_pk_fma_f32 v[210:211], v[178:179], v[56:57], v[210:211]  // 000000008AC8: D3B040D2 1F4A71B2
	v_pk_fma_f32 v[216:217], v[184:185], v[56:57], v[216:217]  // 000000008AD0: D3B040D8 1F6271B8
	v_pk_fma_f32 v[218:219], v[186:187], v[56:57], v[218:219]  // 000000008AD8: D3B040DA 1F6A71BA
	v_mul_f32_dpp v56, v23, v35 row_newbcast:2 row_mask:0xf bank_mask:0xf// 000000008AE0: 0A7046FA FF015217
	v_mov_b32_e32 v57, v56                                     // 000000008AE8: 7E720338
	v_pk_fma_f32 v[196:197], v[164:165], v[56:57], v[196:197]  // 000000008AEC: D3B040C4 1F1271A4
	v_pk_fma_f32 v[198:199], v[166:167], v[56:57], v[198:199]  // 000000008AF4: D3B040C6 1F1A71A6
	v_pk_fma_f32 v[204:205], v[172:173], v[56:57], v[204:205]  // 000000008AFC: D3B040CC 1F3271AC
	v_pk_fma_f32 v[206:207], v[174:175], v[56:57], v[206:207]  // 000000008B04: D3B040CE 1F3A71AE
	v_mul_f32_dpp v56, v23, v35 row_newbcast:3 row_mask:0xf bank_mask:0xf// 000000008B0C: 0A7046FA FF015317
	v_mov_b32_e32 v57, v56                                     // 000000008B14: 7E720338
	v_pk_fma_f32 v[212:213], v[180:181], v[56:57], v[212:213]  // 000000008B18: D3B040D4 1F5271B4
	v_pk_fma_f32 v[214:215], v[182:183], v[56:57], v[214:215]  // 000000008B20: D3B040D6 1F5A71B6
	v_pk_fma_f32 v[220:221], v[188:189], v[56:57], v[220:221]  // 000000008B28: D3B040DC 1F7271BC
	v_pk_fma_f32 v[222:223], v[190:191], v[56:57], v[222:223]  // 000000008B30: D3B040DE 1F7A71BE
	s_add_u32 s60, 0x200, s80                                  // 000000008B38: 803C50FF 00000200
	s_cmp_lt_u32 s60, s81                                      // 000000008B40: BF0A513C
	s_cselect_b32 s56, s56, 0                                  // 000000008B44: 85388038
	s_cselect_b32 s78, s78, 0                                  // 000000008B48: 854E804E
	s_cselect_b32 s79, s79, 0                                  // 000000008B4C: 854F804F
	s_add_u32 s12, s56, s12                                    // 000000008B50: 800C0C38
	s_addc_u32 s13, 0, s13                                     // 000000008B54: 820D0D80
	s_add_u32 s16, s79, s16                                    // 000000008B58: 8010104F
	s_addc_u32 s17, 0, s17                                     // 000000008B5C: 82111180
	v_mov_b32_e32 v56, v25                                     // 000000008B60: 7E700319
	v_mov_b32_e32 v57, v25                                     // 000000008B64: 7E720319
	v_pk_mul_f32 v[192:193], v[56:57], v[192:193]              // 000000008B68: D3B140C0 18038138
	v_pk_mul_f32 v[194:195], v[56:57], v[194:195]              // 000000008B70: D3B140C2 18038538
	v_pk_mul_f32 v[200:201], v[56:57], v[200:201]              // 000000008B78: D3B140C8 18039138
	v_pk_mul_f32 v[202:203], v[56:57], v[202:203]              // 000000008B80: D3B140CA 18039538
	v_pk_mul_f32 v[208:209], v[56:57], v[208:209]              // 000000008B88: D3B140D0 1803A138
	v_pk_mul_f32 v[210:211], v[56:57], v[210:211]              // 000000008B90: D3B140D2 1803A538
	v_pk_mul_f32 v[216:217], v[56:57], v[216:217]              // 000000008B98: D3B140D8 1803B138
	v_pk_mul_f32 v[218:219], v[56:57], v[218:219]              // 000000008BA0: D3B140DA 1803B538
	v_mov_b32_e32 v56, v26                                     // 000000008BA8: 7E70031A
	v_mov_b32_e32 v57, v26                                     // 000000008BAC: 7E72031A
	v_pk_mul_f32 v[196:197], v[56:57], v[196:197]              // 000000008BB0: D3B140C4 18038938
	v_pk_mul_f32 v[198:199], v[56:57], v[198:199]              // 000000008BB8: D3B140C6 18038D38
	v_pk_mul_f32 v[204:205], v[56:57], v[204:205]              // 000000008BC0: D3B140CC 18039938
	v_pk_mul_f32 v[206:207], v[56:57], v[206:207]              // 000000008BC8: D3B140CE 18039D38
	v_pk_mul_f32 v[212:213], v[56:57], v[212:213]              // 000000008BD0: D3B140D4 1803A938
	v_pk_mul_f32 v[214:215], v[56:57], v[214:215]              // 000000008BD8: D3B140D6 1803AD38
	v_pk_mul_f32 v[220:221], v[56:57], v[220:221]              // 000000008BE0: D3B140DC 1803B938
	v_pk_mul_f32 v[222:223], v[56:57], v[222:223]              // 000000008BE8: D3B140DE 1803BD38
	v_cmp_u_f32_e64 s[48:49], v192, v192                       // 000000008BF0: D0480030 000381C0
	v_add3_u32 v52, v192, v55, 1                               // 000000008BF8: D1FF0034 02066FC0
	v_cndmask_b32_e64 v56, v52, v54, s[48:49]                  // 000000008C00: D1000038 00C26D34
	v_cmp_u_f32_e64 s[48:49], v193, v193                       // 000000008C08: D0480030 000383C1
	v_add3_u32 v52, v193, v55, 1                               // 000000008C10: D1FF0034 02066FC1
	v_cndmask_b32_e64 v57, v52, v54, s[48:49]                  // 000000008C18: D1000039 00C26D34
	v_perm_b32 v192, v57, v56, s52                             // 000000008C20: D1ED00C0 00D27139
	v_cmp_u_f32_e64 s[48:49], v194, v194                       // 000000008C28: D0480030 000385C2
	v_add3_u32 v52, v194, v55, 1                               // 000000008C30: D1FF0034 02066FC2
	v_cndmask_b32_e64 v56, v52, v54, s[48:49]                  // 000000008C38: D1000038 00C26D34
	v_cmp_u_f32_e64 s[48:49], v195, v195                       // 000000008C40: D0480030 000387C3
	v_add3_u32 v52, v195, v55, 1                               // 000000008C48: D1FF0034 02066FC3
	v_cndmask_b32_e64 v57, v52, v54, s[48:49]                  // 000000008C50: D1000039 00C26D34
	v_perm_b32 v193, v57, v56, s52                             // 000000008C58: D1ED00C1 00D27139
	v_cmp_u_f32_e64 s[48:49], v196, v196                       // 000000008C60: D0480030 000389C4
	v_add3_u32 v52, v196, v55, 1                               // 000000008C68: D1FF0034 02066FC4
	v_cndmask_b32_e64 v56, v52, v54, s[48:49]                  // 000000008C70: D1000038 00C26D34
	v_cmp_u_f32_e64 s[48:49], v197, v197                       // 000000008C78: D0480030 00038BC5
	v_add3_u32 v52, v197, v55, 1                               // 000000008C80: D1FF0034 02066FC5
	v_cndmask_b32_e64 v57, v52, v54, s[48:49]                  // 000000008C88: D1000039 00C26D34
	v_perm_b32 v194, v57, v56, s52                             // 000000008C90: D1ED00C2 00D27139
	v_cmp_u_f32_e64 s[48:49], v198, v198                       // 000000008C98: D0480030 00038DC6
	v_add3_u32 v52, v198, v55, 1                               // 000000008CA0: D1FF0034 02066FC6
	v_cndmask_b32_e64 v56, v52, v54, s[48:49]                  // 000000008CA8: D1000038 00C26D34
	v_cmp_u_f32_e64 s[48:49], v199, v199                       // 000000008CB0: D0480030 00038FC7
	v_add3_u32 v52, v199, v55, 1                               // 000000008CB8: D1FF0034 02066FC7
	v_cndmask_b32_e64 v57, v52, v54, s[48:49]                  // 000000008CC0: D1000039 00C26D34
	v_perm_b32 v195, v57, v56, s52                             // 000000008CC8: D1ED00C3 00D27139
	v_cmp_u_f32_e64 s[48:49], v200, v200                       // 000000008CD0: D0480030 000391C8
	v_add3_u32 v52, v200, v55, 1                               // 000000008CD8: D1FF0034 02066FC8
	v_cndmask_b32_e64 v56, v52, v54, s[48:49]                  // 000000008CE0: D1000038 00C26D34
	v_cmp_u_f32_e64 s[48:49], v201, v201                       // 000000008CE8: D0480030 000393C9
	v_add3_u32 v52, v201, v55, 1                               // 000000008CF0: D1FF0034 02066FC9
	v_cndmask_b32_e64 v57, v52, v54, s[48:49]                  // 000000008CF8: D1000039 00C26D34
	v_perm_b32 v196, v57, v56, s52                             // 000000008D00: D1ED00C4 00D27139
	v_cmp_u_f32_e64 s[48:49], v202, v202                       // 000000008D08: D0480030 000395CA
	v_add3_u32 v52, v202, v55, 1                               // 000000008D10: D1FF0034 02066FCA
	v_cndmask_b32_e64 v56, v52, v54, s[48:49]                  // 000000008D18: D1000038 00C26D34
	v_cmp_u_f32_e64 s[48:49], v203, v203                       // 000000008D20: D0480030 000397CB
	v_add3_u32 v52, v203, v55, 1                               // 000000008D28: D1FF0034 02066FCB
	v_cndmask_b32_e64 v57, v52, v54, s[48:49]                  // 000000008D30: D1000039 00C26D34
	v_perm_b32 v197, v57, v56, s52                             // 000000008D38: D1ED00C5 00D27139
	v_cmp_u_f32_e64 s[48:49], v204, v204                       // 000000008D40: D0480030 000399CC
	v_add3_u32 v52, v204, v55, 1                               // 000000008D48: D1FF0034 02066FCC
	v_cndmask_b32_e64 v56, v52, v54, s[48:49]                  // 000000008D50: D1000038 00C26D34
	v_cmp_u_f32_e64 s[48:49], v205, v205                       // 000000008D58: D0480030 00039BCD
	v_add3_u32 v52, v205, v55, 1                               // 000000008D60: D1FF0034 02066FCD
	v_cndmask_b32_e64 v57, v52, v54, s[48:49]                  // 000000008D68: D1000039 00C26D34
	v_perm_b32 v198, v57, v56, s52                             // 000000008D70: D1ED00C6 00D27139
	v_cmp_u_f32_e64 s[48:49], v206, v206                       // 000000008D78: D0480030 00039DCE
	v_add3_u32 v52, v206, v55, 1                               // 000000008D80: D1FF0034 02066FCE
	v_cndmask_b32_e64 v56, v52, v54, s[48:49]                  // 000000008D88: D1000038 00C26D34
	v_cmp_u_f32_e64 s[48:49], v207, v207                       // 000000008D90: D0480030 00039FCF
	v_add3_u32 v52, v207, v55, 1                               // 000000008D98: D1FF0034 02066FCF
	v_cndmask_b32_e64 v57, v52, v54, s[48:49]                  // 000000008DA0: D1000039 00C26D34
	v_perm_b32 v199, v57, v56, s52                             // 000000008DA8: D1ED00C7 00D27139
	v_cmp_u_f32_e64 s[48:49], v208, v208                       // 000000008DB0: D0480030 0003A1D0
	v_add3_u32 v52, v208, v55, 1                               // 000000008DB8: D1FF0034 02066FD0
	v_cndmask_b32_e64 v56, v52, v54, s[48:49]                  // 000000008DC0: D1000038 00C26D34
	v_cmp_u_f32_e64 s[48:49], v209, v209                       // 000000008DC8: D0480030 0003A3D1
	v_add3_u32 v52, v209, v55, 1                               // 000000008DD0: D1FF0034 02066FD1
	v_cndmask_b32_e64 v57, v52, v54, s[48:49]                  // 000000008DD8: D1000039 00C26D34
	v_perm_b32 v200, v57, v56, s52                             // 000000008DE0: D1ED00C8 00D27139
	v_cmp_u_f32_e64 s[48:49], v210, v210                       // 000000008DE8: D0480030 0003A5D2
	v_add3_u32 v52, v210, v55, 1                               // 000000008DF0: D1FF0034 02066FD2
	v_cndmask_b32_e64 v56, v52, v54, s[48:49]                  // 000000008DF8: D1000038 00C26D34
	v_cmp_u_f32_e64 s[48:49], v211, v211                       // 000000008E00: D0480030 0003A7D3
	v_add3_u32 v52, v211, v55, 1                               // 000000008E08: D1FF0034 02066FD3
	v_cndmask_b32_e64 v57, v52, v54, s[48:49]                  // 000000008E10: D1000039 00C26D34
	v_perm_b32 v201, v57, v56, s52                             // 000000008E18: D1ED00C9 00D27139
	v_cmp_u_f32_e64 s[48:49], v212, v212                       // 000000008E20: D0480030 0003A9D4
	v_add3_u32 v52, v212, v55, 1                               // 000000008E28: D1FF0034 02066FD4
	v_cndmask_b32_e64 v56, v52, v54, s[48:49]                  // 000000008E30: D1000038 00C26D34
	v_cmp_u_f32_e64 s[48:49], v213, v213                       // 000000008E38: D0480030 0003ABD5
	v_add3_u32 v52, v213, v55, 1                               // 000000008E40: D1FF0034 02066FD5
	v_cndmask_b32_e64 v57, v52, v54, s[48:49]                  // 000000008E48: D1000039 00C26D34
	v_perm_b32 v202, v57, v56, s52                             // 000000008E50: D1ED00CA 00D27139
	v_cmp_u_f32_e64 s[48:49], v214, v214                       // 000000008E58: D0480030 0003ADD6
	v_add3_u32 v52, v214, v55, 1                               // 000000008E60: D1FF0034 02066FD6
	v_cndmask_b32_e64 v56, v52, v54, s[48:49]                  // 000000008E68: D1000038 00C26D34
	v_cmp_u_f32_e64 s[48:49], v215, v215                       // 000000008E70: D0480030 0003AFD7
	v_add3_u32 v52, v215, v55, 1                               // 000000008E78: D1FF0034 02066FD7
	v_cndmask_b32_e64 v57, v52, v54, s[48:49]                  // 000000008E80: D1000039 00C26D34
	v_perm_b32 v203, v57, v56, s52                             // 000000008E88: D1ED00CB 00D27139
	v_cmp_u_f32_e64 s[48:49], v216, v216                       // 000000008E90: D0480030 0003B1D8
	v_add3_u32 v52, v216, v55, 1                               // 000000008E98: D1FF0034 02066FD8
	v_cndmask_b32_e64 v56, v52, v54, s[48:49]                  // 000000008EA0: D1000038 00C26D34
	v_cmp_u_f32_e64 s[48:49], v217, v217                       // 000000008EA8: D0480030 0003B3D9
	v_add3_u32 v52, v217, v55, 1                               // 000000008EB0: D1FF0034 02066FD9
	v_cndmask_b32_e64 v57, v52, v54, s[48:49]                  // 000000008EB8: D1000039 00C26D34
	v_perm_b32 v204, v57, v56, s52                             // 000000008EC0: D1ED00CC 00D27139
	v_cmp_u_f32_e64 s[48:49], v218, v218                       // 000000008EC8: D0480030 0003B5DA
	v_add3_u32 v52, v218, v55, 1                               // 000000008ED0: D1FF0034 02066FDA
	v_cndmask_b32_e64 v56, v52, v54, s[48:49]                  // 000000008ED8: D1000038 00C26D34
	v_cmp_u_f32_e64 s[48:49], v219, v219                       // 000000008EE0: D0480030 0003B7DB
	v_add3_u32 v52, v219, v55, 1                               // 000000008EE8: D1FF0034 02066FDB
	v_cndmask_b32_e64 v57, v52, v54, s[48:49]                  // 000000008EF0: D1000039 00C26D34
	v_perm_b32 v205, v57, v56, s52                             // 000000008EF8: D1ED00CD 00D27139
	v_cmp_u_f32_e64 s[48:49], v220, v220                       // 000000008F00: D0480030 0003B9DC
	v_add3_u32 v52, v220, v55, 1                               // 000000008F08: D1FF0034 02066FDC
	v_cndmask_b32_e64 v56, v52, v54, s[48:49]                  // 000000008F10: D1000038 00C26D34
	v_cmp_u_f32_e64 s[48:49], v221, v221                       // 000000008F18: D0480030 0003BBDD
	v_add3_u32 v52, v221, v55, 1                               // 000000008F20: D1FF0034 02066FDD
	v_cndmask_b32_e64 v57, v52, v54, s[48:49]                  // 000000008F28: D1000039 00C26D34
	v_perm_b32 v206, v57, v56, s52                             // 000000008F30: D1ED00CE 00D27139
	v_cmp_u_f32_e64 s[48:49], v222, v222                       // 000000008F38: D0480030 0003BDDE
	v_add3_u32 v52, v222, v55, 1                               // 000000008F40: D1FF0034 02066FDE
	v_cndmask_b32_e64 v56, v52, v54, s[48:49]                  // 000000008F48: D1000038 00C26D34
	v_cmp_u_f32_e64 s[48:49], v223, v223                       // 000000008F50: D0480030 0003BFDF
	v_add3_u32 v52, v223, v55, 1                               // 000000008F58: D1FF0034 02066FDF
	v_cndmask_b32_e64 v57, v52, v54, s[48:49]                  // 000000008F60: D1000039 00C26D34
	v_perm_b32 v207, v57, v56, s52                             // 000000008F68: D1ED00CF 00D27139
	s_cmp_ge_u32 s80, 0x200                                    // 000000008F70: BF09FF50 00000200
	s_cselect_b32 s59, 0x200, s59                              // 000000008F78: 853B3BFF 00000200
	s_mov_b64 exec, s[20:21]                                   // 000000008F80: BEFE0114
	global_atomic_pk_add_bf16 v80, v64, s[8:9]                 // 000000008F84: DD488000 00084050
	s_mov_b64 exec, s[36:37]                                   // 000000008F8C: BEFE0124
	s_mov_b64 exec, s[20:21]                                   // 000000008F90: BEFE0114
	global_atomic_pk_add_bf16 v80, v65, s[8:9] offset:256      // 000000008F94: DD488100 00084150
	s_mov_b64 exec, s[36:37]                                   // 000000008F9C: BEFE0124
	s_mov_b64 exec, s[22:23]                                   // 000000008FA0: BEFE0116
	global_atomic_pk_add_bf16 v82, v66, s[8:9]                 // 000000008FA4: DD488000 00084252
	s_mov_b64 exec, s[36:37]                                   // 000000008FAC: BEFE0124
	s_mov_b64 exec, s[22:23]                                   // 000000008FB0: BEFE0116
	global_atomic_pk_add_bf16 v82, v67, s[8:9] offset:256      // 000000008FB4: DD488100 00084352
	s_mov_b64 exec, s[36:37]                                   // 000000008FBC: BEFE0124
	s_mov_b64 exec, s[24:25]                                   // 000000008FC0: BEFE0118
	global_atomic_pk_add_bf16 v84, v68, s[8:9]                 // 000000008FC4: DD488000 00084454
	s_mov_b64 exec, s[36:37]                                   // 000000008FCC: BEFE0124
	s_mov_b64 exec, s[24:25]                                   // 000000008FD0: BEFE0118
	global_atomic_pk_add_bf16 v84, v69, s[8:9] offset:256      // 000000008FD4: DD488100 00084554
	s_mov_b64 exec, s[36:37]                                   // 000000008FDC: BEFE0124
	s_mov_b64 exec, s[26:27]                                   // 000000008FE0: BEFE011A
	global_atomic_pk_add_bf16 v86, v70, s[8:9]                 // 000000008FE4: DD488000 00084656
	s_mov_b64 exec, s[36:37]                                   // 000000008FEC: BEFE0124
	s_mov_b64 exec, s[26:27]                                   // 000000008FF0: BEFE011A
	global_atomic_pk_add_bf16 v86, v71, s[8:9] offset:256      // 000000008FF4: DD488100 00084756
	s_mov_b64 exec, s[36:37]                                   // 000000008FFC: BEFE0124
	s_mov_b64 exec, s[28:29]                                   // 000000009000: BEFE011C
	global_atomic_pk_add_bf16 v88, v72, s[8:9]                 // 000000009004: DD488000 00084858
	s_mov_b64 exec, s[36:37]                                   // 00000000900C: BEFE0124
	s_mov_b64 exec, s[28:29]                                   // 000000009010: BEFE011C
	global_atomic_pk_add_bf16 v88, v73, s[8:9] offset:256      // 000000009014: DD488100 00084958
	s_mov_b64 exec, s[36:37]                                   // 00000000901C: BEFE0124
	s_mov_b64 exec, s[30:31]                                   // 000000009020: BEFE011E
	global_atomic_pk_add_bf16 v90, v74, s[8:9]                 // 000000009024: DD488000 00084A5A
	s_mov_b64 exec, s[36:37]                                   // 00000000902C: BEFE0124
	s_mov_b64 exec, s[30:31]                                   // 000000009030: BEFE011E
	global_atomic_pk_add_bf16 v90, v75, s[8:9] offset:256      // 000000009034: DD488100 00084B5A
	s_mov_b64 exec, s[36:37]                                   // 00000000903C: BEFE0124
	s_mov_b64 exec, s[32:33]                                   // 000000009040: BEFE0120
	global_atomic_pk_add_bf16 v92, v76, s[8:9]                 // 000000009044: DD488000 00084C5C
	s_mov_b64 exec, s[36:37]                                   // 00000000904C: BEFE0124
	s_mov_b64 exec, s[32:33]                                   // 000000009050: BEFE0120
	global_atomic_pk_add_bf16 v92, v77, s[8:9] offset:256      // 000000009054: DD488100 00084D5C
	s_mov_b64 exec, s[36:37]                                   // 00000000905C: BEFE0124
	s_mov_b64 exec, s[34:35]                                   // 000000009060: BEFE0122
	global_atomic_pk_add_bf16 v94, v78, s[8:9]                 // 000000009064: DD488000 00084E5E
	s_mov_b64 exec, s[36:37]                                   // 00000000906C: BEFE0124
	s_mov_b64 exec, s[34:35]                                   // 000000009070: BEFE0122
	global_atomic_pk_add_bf16 v94, v79, s[8:9] offset:256      // 000000009074: DD488100 00084F5E
	s_mov_b64 exec, s[36:37]                                   // 00000000907C: BEFE0124
	s_add_u32 s8, s59, s8                                      // 000000009080: 8008083B
	s_addc_u32 s9, 0, s9                                       // 000000009084: 82090980
	s_addk_i32 s80, 0x100                                      // 000000009088: B7500100
	s_cmp_lt_i32 s80, s81                                      // 00000000908C: BF045150
	s_cbranch_scc0 label_0F4A                                  // 000000009090: BF84F5E5
	s_waitcnt vmcnt(28) lgkmcnt(0)                             // 000000009094: BF8C407C
	s_barrier                                                  // 000000009098: BF8A0000
	v_mfma_f32_16x16x32_fp8_fp8 v[224:227], a[64:65], v[128:129], 0// 00000000909C: D3F300E0 0A030140
	buffer_load_dwordx4 a[0:3], v48, s[12:15], 0 offen         // 0000000090A4: E05C1000 80830030
	v_mfma_f32_16x16x32_fp8_fp8 v[224:227], a[66:67], v[130:131], v[224:227]// 0000000090AC: D3F300E0 0F830542
	ds_read_b32 v64, v5 offset:38144                           // 0000000090B4: D86C9500 40000005
	ds_read_b32 v65, v5 offset:42496                           // 0000000090BC: D86CA600 41000005
	v_mfma_f32_16x16x32_fp8_fp8 v[228:231], a[64:65], v[144:145], 0// 0000000090C4: D3F300E4 0A032140
	buffer_load_dword v23, v6, s[16:19], 0 offen               // 0000000090CC: E0501000 80041706
	v_mfma_f32_16x16x32_fp8_fp8 v[228:231], a[66:67], v[146:147], v[228:231]// 0000000090D4: D3F300E4 0F932542
	ds_read_b32 v66, v5 offset:38176                           // 0000000090DC: D86C9520 42000005
	ds_read_b32 v67, v5 offset:42528                           // 0000000090E4: D86CA620 43000005
	v_mfma_f32_16x16x32_fp8_fp8 v[232:235], a[68:69], v[128:129], 0// 0000000090EC: D3F300E8 0A030144
	buffer_load_dwordx4 a[4:7], v49, s[12:15], 0 offen         // 0000000090F4: E05C1000 80830431
	v_mfma_f32_16x16x32_fp8_fp8 v[232:235], a[70:71], v[130:131], v[232:235]// 0000000090FC: D3F300E8 0FA30546
	ds_read_b32 v68, v5 offset:38208                           // 000000009104: D86C9540 44000005
	ds_read_b32 v69, v5 offset:42560                           // 00000000910C: D86CA640 45000005
	v_mfma_f32_16x16x32_fp8_fp8 v[236:239], a[68:69], v[144:145], 0// 000000009114: D3F300EC 0A032144
	v_mfma_f32_16x16x32_fp8_fp8 v[236:239], a[70:71], v[146:147], v[236:239]// 00000000911C: D3F300EC 0FB32546
	ds_read_b32 v70, v5 offset:38240                           // 000000009124: D86C9560 46000005
	ds_read_b32 v71, v5 offset:42592                           // 00000000912C: D86CA660 47000005
	v_mfma_f32_16x16x32_fp8_fp8 v[240:243], a[72:73], v[128:129], 0// 000000009134: D3F300F0 0A030148
	buffer_load_dwordx4 a[8:11], v50, s[12:15], 0 offen        // 00000000913C: E05C1000 80830832
	v_mfma_f32_16x16x32_fp8_fp8 v[240:243], a[74:75], v[130:131], v[240:243]// 000000009144: D3F300F0 0FC3054A
	ds_read_b32 v72, v5 offset:46848                           // 00000000914C: D86CB700 48000005
	ds_read_b32 v73, v5 offset:51200                           // 000000009154: D86CC800 49000005
	v_mfma_f32_16x16x32_fp8_fp8 v[244:247], a[72:73], v[144:145], 0// 00000000915C: D3F300F4 0A032148
	v_mfma_f32_16x16x32_fp8_fp8 v[244:247], a[74:75], v[146:147], v[244:247]// 000000009164: D3F300F4 0FD3254A
	ds_read_b32 v74, v5 offset:46880                           // 00000000916C: D86CB720 4A000005
	ds_read_b32 v75, v5 offset:51232                           // 000000009174: D86CC820 4B000005
	v_mfma_f32_16x16x32_fp8_fp8 v[248:251], a[76:77], v[128:129], 0// 00000000917C: D3F300F8 0A03014C
	buffer_load_dwordx4 a[12:15], v51, s[12:15], 0 offen       // 000000009184: E05C1000 80830C33
	s_add_u32 s12, s78, s12                                    // 00000000918C: 800C0C4E
	s_addc_u32 s13, 0, s13                                     // 000000009190: 820D0D80
	v_mfma_f32_16x16x32_fp8_fp8 v[248:251], a[78:79], v[130:131], v[248:251]// 000000009194: D3F300F8 0FE3054E
	ds_read_b32 v76, v5 offset:46912                           // 00000000919C: D86CB740 4C000005
	ds_read_b32 v77, v5 offset:51264                           // 0000000091A4: D86CC840 4D000005
	v_mfma_f32_16x16x32_fp8_fp8 v[252:255], a[76:77], v[144:145], 0// 0000000091AC: D3F300FC 0A03214C
	v_mfma_f32_16x16x32_fp8_fp8 v[252:255], a[78:79], v[146:147], v[252:255]// 0000000091B4: D3F300FC 0FF3254E
	ds_read_b32 v78, v5 offset:46944                           // 0000000091BC: D86CB760 4E000005
	ds_read_b32 v79, v5 offset:51296                           // 0000000091C4: D86CC860 4F000005
	s_waitcnt vmcnt(29)                                        // 0000000091CC: BF8C4F7D
	v_mfma_f32_16x16x32_fp8_fp8 v[224:227], a[80:81], v[132:133], v[224:227]// 0000000091D0: D3F300E0 0F830950
	buffer_load_dwordx4 a[16:19], v48, s[12:15], 0 offen       // 0000000091D8: E05C1000 80831030
	v_mfma_f32_16x16x32_fp8_fp8 v[224:227], a[82:83], v[134:135], v[224:227]// 0000000091E0: D3F300E0 0F830D52
	v_mfma_f32_16x16x32_fp8_fp8 v[228:231], a[80:81], v[148:149], v[228:231]// 0000000091E8: D3F300E4 0F932950
	v_mfma_f32_16x16x32_fp8_fp8 v[228:231], a[82:83], v[150:151], v[228:231]// 0000000091F0: D3F300E4 0F932D52
	v_mfma_f32_16x16x32_fp8_fp8 v[232:235], a[84:85], v[132:133], v[232:235]// 0000000091F8: D3F300E8 0FA30954
	buffer_load_dwordx4 a[20:23], v49, s[12:15], 0 offen       // 000000009200: E05C1000 80831431
	v_mfma_f32_16x16x32_fp8_fp8 v[232:235], a[86:87], v[134:135], v[232:235]// 000000009208: D3F300E8 0FA30D56
	v_mfma_f32_16x16x32_fp8_fp8 v[236:239], a[84:85], v[148:149], v[236:239]// 000000009210: D3F300EC 0FB32954
	v_mfma_f32_16x16x32_fp8_fp8 v[236:239], a[86:87], v[150:151], v[236:239]// 000000009218: D3F300EC 0FB32D56
	v_mfma_f32_16x16x32_fp8_fp8 v[240:243], a[88:89], v[132:133], v[240:243]// 000000009220: D3F300F0 0FC30958
	buffer_load_dwordx4 a[24:27], v50, s[12:15], 0 offen       // 000000009228: E05C1000 80831832
	v_mfma_f32_16x16x32_fp8_fp8 v[240:243], a[90:91], v[134:135], v[240:243]// 000000009230: D3F300F0 0FC30D5A
	v_mfma_f32_16x16x32_fp8_fp8 v[244:247], a[88:89], v[148:149], v[244:247]// 000000009238: D3F300F4 0FD32958
	v_mfma_f32_16x16x32_fp8_fp8 v[244:247], a[90:91], v[150:151], v[244:247]// 000000009240: D3F300F4 0FD32D5A
	v_mfma_f32_16x16x32_fp8_fp8 v[248:251], a[92:93], v[132:133], v[248:251]// 000000009248: D3F300F8 0FE3095C
	buffer_load_dwordx4 a[28:31], v51, s[12:15], 0 offen       // 000000009250: E05C1000 80831C33
	s_add_u32 s12, s78, s12                                    // 000000009258: 800C0C4E
	s_addc_u32 s13, 0, s13                                     // 00000000925C: 820D0D80
	v_mfma_f32_16x16x32_fp8_fp8 v[248:251], a[94:95], v[134:135], v[248:251]// 000000009260: D3F300F8 0FE30D5E
	v_mfma_f32_16x16x32_fp8_fp8 v[252:255], a[92:93], v[148:149], v[252:255]// 000000009268: D3F300FC 0FF3295C
	v_mfma_f32_16x16x32_fp8_fp8 v[252:255], a[94:95], v[150:151], v[252:255]// 000000009270: D3F300FC 0FF32D5E
	v_mul_f32_dpp v56, v24, v32 row_newbcast:0 row_mask:0xf bank_mask:0xf// 000000009278: 0A7040FA FF015018
	v_mov_b32_e32 v57, v56                                     // 000000009280: 7E720338
	v_pk_mul_f32 v[224:225], v[56:57], v[224:225]              // 000000009284: D3B140E0 1803C138
	v_pk_mul_f32 v[226:227], v[56:57], v[226:227]              // 00000000928C: D3B140E2 1803C538
	v_pk_mul_f32 v[232:233], v[56:57], v[232:233]              // 000000009294: D3B140E8 1803D138
	v_pk_mul_f32 v[234:235], v[56:57], v[234:235]              // 00000000929C: D3B140EA 1803D538
	v_mul_f32_dpp v56, v24, v32 row_newbcast:1 row_mask:0xf bank_mask:0xf// 0000000092A4: 0A7040FA FF015118
	v_mov_b32_e32 v57, v56                                     // 0000000092AC: 7E720338
	v_pk_mul_f32 v[240:241], v[56:57], v[240:241]              // 0000000092B0: D3B140F0 1803E138
	v_pk_mul_f32 v[242:243], v[56:57], v[242:243]              // 0000000092B8: D3B140F2 1803E538
	v_pk_mul_f32 v[248:249], v[56:57], v[248:249]              // 0000000092C0: D3B140F8 1803F138
	v_pk_mul_f32 v[250:251], v[56:57], v[250:251]              // 0000000092C8: D3B140FA 1803F538
	v_mul_f32_dpp v56, v24, v33 row_newbcast:0 row_mask:0xf bank_mask:0xf// 0000000092D0: 0A7042FA FF015018
	v_mov_b32_e32 v57, v56                                     // 0000000092D8: 7E720338
	v_pk_mul_f32 v[228:229], v[56:57], v[228:229]              // 0000000092DC: D3B140E4 1803C938
	v_pk_mul_f32 v[230:231], v[56:57], v[230:231]              // 0000000092E4: D3B140E6 1803CD38
	v_pk_mul_f32 v[236:237], v[56:57], v[236:237]              // 0000000092EC: D3B140EC 1803D938
	v_pk_mul_f32 v[238:239], v[56:57], v[238:239]              // 0000000092F4: D3B140EE 1803DD38
	v_mul_f32_dpp v56, v24, v33 row_newbcast:1 row_mask:0xf bank_mask:0xf// 0000000092FC: 0A7042FA FF015118
	v_mov_b32_e32 v57, v56                                     // 000000009304: 7E720338
	v_pk_mul_f32 v[244:245], v[56:57], v[244:245]              // 000000009308: D3B140F4 1803E938
	v_pk_mul_f32 v[246:247], v[56:57], v[246:247]              // 000000009310: D3B140F6 1803ED38
	v_pk_mul_f32 v[252:253], v[56:57], v[252:253]              // 000000009318: D3B140FC 1803F938
	v_pk_mul_f32 v[254:255], v[56:57], v[254:255]              // 000000009320: D3B140FE 1803FD38
	s_waitcnt vmcnt(29)                                        // 000000009328: BF8C4F7D
	v_mfma_f32_16x16x32_fp8_fp8 v[160:163], a[96:97], v[136:137], 0// 00000000932C: D3F300A0 0A031160
	buffer_load_dwordx4 a[32:35], v48, s[12:15], 0 offen       // 000000009334: E05C1000 80832030
	v_mfma_f32_16x16x32_fp8_fp8 v[160:163], a[98:99], v[138:139], v[160:163]// 00000000933C: D3F300A0 0E831562
	ds_write_b64 v4, v[192:193] offset:20736                   // 000000009344: D89A5100 0000C004
	v_mfma_f32_16x16x32_fp8_fp8 v[164:167], a[96:97], v[152:153], 0// 00000000934C: D3F300A4 0A033160
	v_mfma_f32_16x16x32_fp8_fp8 v[164:167], a[98:99], v[154:155], v[164:167]// 000000009354: D3F300A4 0E933562
	ds_write_b64 v4, v[194:195] offset:29440                   // 00000000935C: D89A7300 0000C204
	v_mfma_f32_16x16x32_fp8_fp8 v[168:171], a[100:101], v[136:137], 0// 000000009364: D3F300A8 0A031164
	buffer_load_dwordx4 a[36:39], v49, s[12:15], 0 offen       // 00000000936C: E05C1000 80832431
	v_mfma_f32_16x16x32_fp8_fp8 v[168:171], a[102:103], v[138:139], v[168:171]// 000000009374: D3F300A8 0EA31566
	ds_write_b64 v4, v[196:197] offset:22912                   // 00000000937C: D89A5980 0000C404
	v_mfma_f32_16x16x32_fp8_fp8 v[172:175], a[100:101], v[152:153], 0// 000000009384: D3F300AC 0A033164
	v_mfma_f32_16x16x32_fp8_fp8 v[172:175], a[102:103], v[154:155], v[172:175]// 00000000938C: D3F300AC 0EB33566
	ds_write_b64 v4, v[198:199] offset:31616                   // 000000009394: D89A7B80 0000C604
	v_mfma_f32_16x16x32_fp8_fp8 v[176:179], a[104:105], v[136:137], 0// 00000000939C: D3F300B0 0A031168
	buffer_load_dwordx4 a[40:43], v50, s[12:15], 0 offen       // 0000000093A4: E05C1000 80832832
	v_mfma_f32_16x16x32_fp8_fp8 v[176:179], a[106:107], v[138:139], v[176:179]// 0000000093AC: D3F300B0 0EC3156A
	ds_write_b64 v4, v[200:201] offset:25088                   // 0000000093B4: D89A6200 0000C804
	v_mfma_f32_16x16x32_fp8_fp8 v[180:183], a[104:105], v[152:153], 0// 0000000093BC: D3F300B4 0A033168
	v_mfma_f32_16x16x32_fp8_fp8 v[180:183], a[106:107], v[154:155], v[180:183]// 0000000093C4: D3F300B4 0ED3356A
	ds_write_b64 v4, v[202:203] offset:33792                   // 0000000093CC: D89A8400 0000CA04
	v_mfma_f32_16x16x32_fp8_fp8 v[184:187], a[108:109], v[136:137], 0// 0000000093D4: D3F300B8 0A03116C
	buffer_load_dwordx4 a[44:47], v51, s[12:15], 0 offen       // 0000000093DC: E05C1000 80832C33
	s_add_u32 s12, s78, s12                                    // 0000000093E4: 800C0C4E
	s_addc_u32 s13, 0, s13                                     // 0000000093E8: 820D0D80
	v_mfma_f32_16x16x32_fp8_fp8 v[184:187], a[110:111], v[138:139], v[184:187]// 0000000093EC: D3F300B8 0EE3156E
	ds_write_b64 v4, v[204:205] offset:27264                   // 0000000093F4: D89A6A80 0000CC04
	v_mfma_f32_16x16x32_fp8_fp8 v[188:191], a[108:109], v[152:153], 0// 0000000093FC: D3F300BC 0A03316C
	v_mfma_f32_16x16x32_fp8_fp8 v[188:191], a[110:111], v[154:155], v[188:191]// 000000009404: D3F300BC 0EF3356E
	ds_write_b64 v4, v[206:207] offset:35968                   // 00000000940C: D89A8C80 0000CE04
	s_waitcnt vmcnt(29)                                        // 000000009414: BF8C4F7D
	v_mfma_f32_16x16x32_fp8_fp8 v[160:163], a[112:113], v[140:141], v[160:163]// 000000009418: D3F300A0 0E831970
	buffer_load_dwordx4 a[48:51], v48, s[12:15], 0 offen       // 000000009420: E05C1000 80833030
	v_mfma_f32_16x16x32_fp8_fp8 v[160:163], a[114:115], v[142:143], v[160:163]// 000000009428: D3F300A0 0E831D72
	v_mfma_f32_16x16x32_fp8_fp8 v[164:167], a[112:113], v[156:157], v[164:167]// 000000009430: D3F300A4 0E933970
	v_mfma_f32_16x16x32_fp8_fp8 v[164:167], a[114:115], v[158:159], v[164:167]// 000000009438: D3F300A4 0E933D72
	v_mfma_f32_16x16x32_fp8_fp8 v[168:171], a[116:117], v[140:141], v[168:171]// 000000009440: D3F300A8 0EA31974
	buffer_load_dwordx4 a[52:55], v49, s[12:15], 0 offen       // 000000009448: E05C1000 80833431
	v_mfma_f32_16x16x32_fp8_fp8 v[168:171], a[118:119], v[142:143], v[168:171]// 000000009450: D3F300A8 0EA31D76
	v_mfma_f32_16x16x32_fp8_fp8 v[172:175], a[116:117], v[156:157], v[172:175]// 000000009458: D3F300AC 0EB33974
	v_mfma_f32_16x16x32_fp8_fp8 v[172:175], a[118:119], v[158:159], v[172:175]// 000000009460: D3F300AC 0EB33D76
	v_mfma_f32_16x16x32_fp8_fp8 v[176:179], a[120:121], v[140:141], v[176:179]// 000000009468: D3F300B0 0EC31978
	buffer_load_dwordx4 a[56:59], v50, s[12:15], 0 offen       // 000000009470: E05C1000 80833832
	v_mfma_f32_16x16x32_fp8_fp8 v[176:179], a[122:123], v[142:143], v[176:179]// 000000009478: D3F300B0 0EC31D7A
	v_mfma_f32_16x16x32_fp8_fp8 v[180:183], a[120:121], v[156:157], v[180:183]// 000000009480: D3F300B4 0ED33978
	v_mfma_f32_16x16x32_fp8_fp8 v[180:183], a[122:123], v[158:159], v[180:183]// 000000009488: D3F300B4 0ED33D7A
	v_mfma_f32_16x16x32_fp8_fp8 v[184:187], a[124:125], v[140:141], v[184:187]// 000000009490: D3F300B8 0EE3197C
	buffer_load_dwordx4 a[60:63], v51, s[12:15], 0 offen       // 000000009498: E05C1000 80833C33
	v_mfma_f32_16x16x32_fp8_fp8 v[184:187], a[126:127], v[142:143], v[184:187]// 0000000094A0: D3F300B8 0EE31D7E
	v_mfma_f32_16x16x32_fp8_fp8 v[188:191], a[124:125], v[156:157], v[188:191]// 0000000094A8: D3F300BC 0EF3397C
	v_mfma_f32_16x16x32_fp8_fp8 v[188:191], a[126:127], v[158:159], v[188:191]// 0000000094B0: D3F300BC 0EF33D7E
	v_mul_f32_dpp v56, v24, v34 row_newbcast:2 row_mask:0xf bank_mask:0xf// 0000000094B8: 0A7044FA FF015218
	v_mov_b32_e32 v57, v56                                     // 0000000094C0: 7E720338
	v_pk_fma_f32 v[224:225], v[160:161], v[56:57], v[224:225]  // 0000000094C4: D3B040E0 1F8271A0
	v_pk_fma_f32 v[226:227], v[162:163], v[56:57], v[226:227]  // 0000000094CC: D3B040E2 1F8A71A2
	v_pk_fma_f32 v[232:233], v[168:169], v[56:57], v[232:233]  // 0000000094D4: D3B040E8 1FA271A8
	v_pk_fma_f32 v[234:235], v[170:171], v[56:57], v[234:235]  // 0000000094DC: D3B040EA 1FAA71AA
	v_mul_f32_dpp v56, v24, v34 row_newbcast:3 row_mask:0xf bank_mask:0xf// 0000000094E4: 0A7044FA FF015318
	v_mov_b32_e32 v57, v56                                     // 0000000094EC: 7E720338
	v_pk_fma_f32 v[240:241], v[176:177], v[56:57], v[240:241]  // 0000000094F0: D3B040F0 1FC271B0
	v_pk_fma_f32 v[242:243], v[178:179], v[56:57], v[242:243]  // 0000000094F8: D3B040F2 1FCA71B2
	v_pk_fma_f32 v[248:249], v[184:185], v[56:57], v[248:249]  // 000000009500: D3B040F8 1FE271B8
	v_pk_fma_f32 v[250:251], v[186:187], v[56:57], v[250:251]  // 000000009508: D3B040FA 1FEA71BA
	v_mul_f32_dpp v56, v24, v35 row_newbcast:2 row_mask:0xf bank_mask:0xf// 000000009510: 0A7046FA FF015218
	v_mov_b32_e32 v57, v56                                     // 000000009518: 7E720338
	v_pk_fma_f32 v[228:229], v[164:165], v[56:57], v[228:229]  // 00000000951C: D3B040E4 1F9271A4
	v_pk_fma_f32 v[230:231], v[166:167], v[56:57], v[230:231]  // 000000009524: D3B040E6 1F9A71A6
	v_pk_fma_f32 v[236:237], v[172:173], v[56:57], v[236:237]  // 00000000952C: D3B040EC 1FB271AC
	v_pk_fma_f32 v[238:239], v[174:175], v[56:57], v[238:239]  // 000000009534: D3B040EE 1FBA71AE
	v_mul_f32_dpp v56, v24, v35 row_newbcast:3 row_mask:0xf bank_mask:0xf// 00000000953C: 0A7046FA FF015318
	v_mov_b32_e32 v57, v56                                     // 000000009544: 7E720338
	v_pk_fma_f32 v[244:245], v[180:181], v[56:57], v[244:245]  // 000000009548: D3B040F4 1FD271B4
	v_pk_fma_f32 v[246:247], v[182:183], v[56:57], v[246:247]  // 000000009550: D3B040F6 1FDA71B6
	v_pk_fma_f32 v[252:253], v[188:189], v[56:57], v[252:253]  // 000000009558: D3B040FC 1FF271BC
	v_pk_fma_f32 v[254:255], v[190:191], v[56:57], v[254:255]  // 000000009560: D3B040FE 1FFA71BE
	s_add_u32 s60, 0x200, s80                                  // 000000009568: 803C50FF 00000200
	s_cmp_lt_u32 s60, s81                                      // 000000009570: BF0A513C
	s_cselect_b32 s56, s56, 0                                  // 000000009574: 85388038
	s_cselect_b32 s78, s78, 0                                  // 000000009578: 854E804E
	s_cselect_b32 s79, s79, 0                                  // 00000000957C: 854F804F
	s_add_u32 s12, s56, s12                                    // 000000009580: 800C0C38
	s_addc_u32 s13, 0, s13                                     // 000000009584: 820D0D80
	s_add_u32 s16, s79, s16                                    // 000000009588: 8010104F
	s_addc_u32 s17, 0, s17                                     // 00000000958C: 82111180
	v_mov_b32_e32 v56, v25                                     // 000000009590: 7E700319
	v_mov_b32_e32 v57, v25                                     // 000000009594: 7E720319
	v_pk_mul_f32 v[224:225], v[56:57], v[224:225]              // 000000009598: D3B140E0 1803C138
	v_pk_mul_f32 v[226:227], v[56:57], v[226:227]              // 0000000095A0: D3B140E2 1803C538
	v_pk_mul_f32 v[232:233], v[56:57], v[232:233]              // 0000000095A8: D3B140E8 1803D138
	v_pk_mul_f32 v[234:235], v[56:57], v[234:235]              // 0000000095B0: D3B140EA 1803D538
	v_pk_mul_f32 v[240:241], v[56:57], v[240:241]              // 0000000095B8: D3B140F0 1803E138
	v_pk_mul_f32 v[242:243], v[56:57], v[242:243]              // 0000000095C0: D3B140F2 1803E538
	v_pk_mul_f32 v[248:249], v[56:57], v[248:249]              // 0000000095C8: D3B140F8 1803F138
	v_pk_mul_f32 v[250:251], v[56:57], v[250:251]              // 0000000095D0: D3B140FA 1803F538
	v_mov_b32_e32 v56, v26                                     // 0000000095D8: 7E70031A
	v_mov_b32_e32 v57, v26                                     // 0000000095DC: 7E72031A
	v_pk_mul_f32 v[228:229], v[56:57], v[228:229]              // 0000000095E0: D3B140E4 1803C938
	v_pk_mul_f32 v[230:231], v[56:57], v[230:231]              // 0000000095E8: D3B140E6 1803CD38
	v_pk_mul_f32 v[236:237], v[56:57], v[236:237]              // 0000000095F0: D3B140EC 1803D938
	v_pk_mul_f32 v[238:239], v[56:57], v[238:239]              // 0000000095F8: D3B140EE 1803DD38
	v_pk_mul_f32 v[244:245], v[56:57], v[244:245]              // 000000009600: D3B140F4 1803E938
	v_pk_mul_f32 v[246:247], v[56:57], v[246:247]              // 000000009608: D3B140F6 1803ED38
	v_pk_mul_f32 v[252:253], v[56:57], v[252:253]              // 000000009610: D3B140FC 1803F938
	v_pk_mul_f32 v[254:255], v[56:57], v[254:255]              // 000000009618: D3B140FE 1803FD38
	v_cmp_u_f32_e64 s[48:49], v224, v224                       // 000000009620: D0480030 0003C1E0
	v_add3_u32 v52, v224, v55, 1                               // 000000009628: D1FF0034 02066FE0
	v_cndmask_b32_e64 v56, v52, v54, s[48:49]                  // 000000009630: D1000038 00C26D34
	v_cmp_u_f32_e64 s[48:49], v225, v225                       // 000000009638: D0480030 0003C3E1
	v_add3_u32 v52, v225, v55, 1                               // 000000009640: D1FF0034 02066FE1
	v_cndmask_b32_e64 v57, v52, v54, s[48:49]                  // 000000009648: D1000039 00C26D34
	v_perm_b32 v224, v57, v56, s52                             // 000000009650: D1ED00E0 00D27139
	v_cmp_u_f32_e64 s[48:49], v226, v226                       // 000000009658: D0480030 0003C5E2
	v_add3_u32 v52, v226, v55, 1                               // 000000009660: D1FF0034 02066FE2
	v_cndmask_b32_e64 v56, v52, v54, s[48:49]                  // 000000009668: D1000038 00C26D34
	v_cmp_u_f32_e64 s[48:49], v227, v227                       // 000000009670: D0480030 0003C7E3
	v_add3_u32 v52, v227, v55, 1                               // 000000009678: D1FF0034 02066FE3
	v_cndmask_b32_e64 v57, v52, v54, s[48:49]                  // 000000009680: D1000039 00C26D34
	v_perm_b32 v225, v57, v56, s52                             // 000000009688: D1ED00E1 00D27139
	v_cmp_u_f32_e64 s[48:49], v228, v228                       // 000000009690: D0480030 0003C9E4
	v_add3_u32 v52, v228, v55, 1                               // 000000009698: D1FF0034 02066FE4
	v_cndmask_b32_e64 v56, v52, v54, s[48:49]                  // 0000000096A0: D1000038 00C26D34
	v_cmp_u_f32_e64 s[48:49], v229, v229                       // 0000000096A8: D0480030 0003CBE5
	v_add3_u32 v52, v229, v55, 1                               // 0000000096B0: D1FF0034 02066FE5
	v_cndmask_b32_e64 v57, v52, v54, s[48:49]                  // 0000000096B8: D1000039 00C26D34
	v_perm_b32 v226, v57, v56, s52                             // 0000000096C0: D1ED00E2 00D27139
	v_cmp_u_f32_e64 s[48:49], v230, v230                       // 0000000096C8: D0480030 0003CDE6
	v_add3_u32 v52, v230, v55, 1                               // 0000000096D0: D1FF0034 02066FE6
	v_cndmask_b32_e64 v56, v52, v54, s[48:49]                  // 0000000096D8: D1000038 00C26D34
	v_cmp_u_f32_e64 s[48:49], v231, v231                       // 0000000096E0: D0480030 0003CFE7
	v_add3_u32 v52, v231, v55, 1                               // 0000000096E8: D1FF0034 02066FE7
	v_cndmask_b32_e64 v57, v52, v54, s[48:49]                  // 0000000096F0: D1000039 00C26D34
	v_perm_b32 v227, v57, v56, s52                             // 0000000096F8: D1ED00E3 00D27139
	v_cmp_u_f32_e64 s[48:49], v232, v232                       // 000000009700: D0480030 0003D1E8
	v_add3_u32 v52, v232, v55, 1                               // 000000009708: D1FF0034 02066FE8
	v_cndmask_b32_e64 v56, v52, v54, s[48:49]                  // 000000009710: D1000038 00C26D34
	v_cmp_u_f32_e64 s[48:49], v233, v233                       // 000000009718: D0480030 0003D3E9
	v_add3_u32 v52, v233, v55, 1                               // 000000009720: D1FF0034 02066FE9
	v_cndmask_b32_e64 v57, v52, v54, s[48:49]                  // 000000009728: D1000039 00C26D34
	v_perm_b32 v228, v57, v56, s52                             // 000000009730: D1ED00E4 00D27139
	v_cmp_u_f32_e64 s[48:49], v234, v234                       // 000000009738: D0480030 0003D5EA
	v_add3_u32 v52, v234, v55, 1                               // 000000009740: D1FF0034 02066FEA
	v_cndmask_b32_e64 v56, v52, v54, s[48:49]                  // 000000009748: D1000038 00C26D34
	v_cmp_u_f32_e64 s[48:49], v235, v235                       // 000000009750: D0480030 0003D7EB
	v_add3_u32 v52, v235, v55, 1                               // 000000009758: D1FF0034 02066FEB
	v_cndmask_b32_e64 v57, v52, v54, s[48:49]                  // 000000009760: D1000039 00C26D34
	v_perm_b32 v229, v57, v56, s52                             // 000000009768: D1ED00E5 00D27139
	v_cmp_u_f32_e64 s[48:49], v236, v236                       // 000000009770: D0480030 0003D9EC
	v_add3_u32 v52, v236, v55, 1                               // 000000009778: D1FF0034 02066FEC
	v_cndmask_b32_e64 v56, v52, v54, s[48:49]                  // 000000009780: D1000038 00C26D34
	v_cmp_u_f32_e64 s[48:49], v237, v237                       // 000000009788: D0480030 0003DBED
	v_add3_u32 v52, v237, v55, 1                               // 000000009790: D1FF0034 02066FED
	v_cndmask_b32_e64 v57, v52, v54, s[48:49]                  // 000000009798: D1000039 00C26D34
	v_perm_b32 v230, v57, v56, s52                             // 0000000097A0: D1ED00E6 00D27139
	v_cmp_u_f32_e64 s[48:49], v238, v238                       // 0000000097A8: D0480030 0003DDEE
	v_add3_u32 v52, v238, v55, 1                               // 0000000097B0: D1FF0034 02066FEE
	v_cndmask_b32_e64 v56, v52, v54, s[48:49]                  // 0000000097B8: D1000038 00C26D34
	v_cmp_u_f32_e64 s[48:49], v239, v239                       // 0000000097C0: D0480030 0003DFEF
	v_add3_u32 v52, v239, v55, 1                               // 0000000097C8: D1FF0034 02066FEF
	v_cndmask_b32_e64 v57, v52, v54, s[48:49]                  // 0000000097D0: D1000039 00C26D34
	v_perm_b32 v231, v57, v56, s52                             // 0000000097D8: D1ED00E7 00D27139
	v_cmp_u_f32_e64 s[48:49], v240, v240                       // 0000000097E0: D0480030 0003E1F0
	v_add3_u32 v52, v240, v55, 1                               // 0000000097E8: D1FF0034 02066FF0
	v_cndmask_b32_e64 v56, v52, v54, s[48:49]                  // 0000000097F0: D1000038 00C26D34
	v_cmp_u_f32_e64 s[48:49], v241, v241                       // 0000000097F8: D0480030 0003E3F1
	v_add3_u32 v52, v241, v55, 1                               // 000000009800: D1FF0034 02066FF1
	v_cndmask_b32_e64 v57, v52, v54, s[48:49]                  // 000000009808: D1000039 00C26D34
	v_perm_b32 v232, v57, v56, s52                             // 000000009810: D1ED00E8 00D27139
	v_cmp_u_f32_e64 s[48:49], v242, v242                       // 000000009818: D0480030 0003E5F2
	v_add3_u32 v52, v242, v55, 1                               // 000000009820: D1FF0034 02066FF2
	v_cndmask_b32_e64 v56, v52, v54, s[48:49]                  // 000000009828: D1000038 00C26D34
	v_cmp_u_f32_e64 s[48:49], v243, v243                       // 000000009830: D0480030 0003E7F3
	v_add3_u32 v52, v243, v55, 1                               // 000000009838: D1FF0034 02066FF3
	v_cndmask_b32_e64 v57, v52, v54, s[48:49]                  // 000000009840: D1000039 00C26D34
	v_perm_b32 v233, v57, v56, s52                             // 000000009848: D1ED00E9 00D27139
	v_cmp_u_f32_e64 s[48:49], v244, v244                       // 000000009850: D0480030 0003E9F4
	v_add3_u32 v52, v244, v55, 1                               // 000000009858: D1FF0034 02066FF4
	v_cndmask_b32_e64 v56, v52, v54, s[48:49]                  // 000000009860: D1000038 00C26D34
	v_cmp_u_f32_e64 s[48:49], v245, v245                       // 000000009868: D0480030 0003EBF5
	v_add3_u32 v52, v245, v55, 1                               // 000000009870: D1FF0034 02066FF5
	v_cndmask_b32_e64 v57, v52, v54, s[48:49]                  // 000000009878: D1000039 00C26D34
	v_perm_b32 v234, v57, v56, s52                             // 000000009880: D1ED00EA 00D27139
	v_cmp_u_f32_e64 s[48:49], v246, v246                       // 000000009888: D0480030 0003EDF6
	v_add3_u32 v52, v246, v55, 1                               // 000000009890: D1FF0034 02066FF6
	v_cndmask_b32_e64 v56, v52, v54, s[48:49]                  // 000000009898: D1000038 00C26D34
	v_cmp_u_f32_e64 s[48:49], v247, v247                       // 0000000098A0: D0480030 0003EFF7
	v_add3_u32 v52, v247, v55, 1                               // 0000000098A8: D1FF0034 02066FF7
	v_cndmask_b32_e64 v57, v52, v54, s[48:49]                  // 0000000098B0: D1000039 00C26D34
	v_perm_b32 v235, v57, v56, s52                             // 0000000098B8: D1ED00EB 00D27139
	v_cmp_u_f32_e64 s[48:49], v248, v248                       // 0000000098C0: D0480030 0003F1F8
	v_add3_u32 v52, v248, v55, 1                               // 0000000098C8: D1FF0034 02066FF8
	v_cndmask_b32_e64 v56, v52, v54, s[48:49]                  // 0000000098D0: D1000038 00C26D34
	v_cmp_u_f32_e64 s[48:49], v249, v249                       // 0000000098D8: D0480030 0003F3F9
	v_add3_u32 v52, v249, v55, 1                               // 0000000098E0: D1FF0034 02066FF9
	v_cndmask_b32_e64 v57, v52, v54, s[48:49]                  // 0000000098E8: D1000039 00C26D34
	v_perm_b32 v236, v57, v56, s52                             // 0000000098F0: D1ED00EC 00D27139
	v_cmp_u_f32_e64 s[48:49], v250, v250                       // 0000000098F8: D0480030 0003F5FA
	v_add3_u32 v52, v250, v55, 1                               // 000000009900: D1FF0034 02066FFA
	v_cndmask_b32_e64 v56, v52, v54, s[48:49]                  // 000000009908: D1000038 00C26D34
	v_cmp_u_f32_e64 s[48:49], v251, v251                       // 000000009910: D0480030 0003F7FB
	v_add3_u32 v52, v251, v55, 1                               // 000000009918: D1FF0034 02066FFB
	v_cndmask_b32_e64 v57, v52, v54, s[48:49]                  // 000000009920: D1000039 00C26D34
	v_perm_b32 v237, v57, v56, s52                             // 000000009928: D1ED00ED 00D27139
	v_cmp_u_f32_e64 s[48:49], v252, v252                       // 000000009930: D0480030 0003F9FC
	v_add3_u32 v52, v252, v55, 1                               // 000000009938: D1FF0034 02066FFC
	v_cndmask_b32_e64 v56, v52, v54, s[48:49]                  // 000000009940: D1000038 00C26D34
	v_cmp_u_f32_e64 s[48:49], v253, v253                       // 000000009948: D0480030 0003FBFD
	v_add3_u32 v52, v253, v55, 1                               // 000000009950: D1FF0034 02066FFD
	v_cndmask_b32_e64 v57, v52, v54, s[48:49]                  // 000000009958: D1000039 00C26D34
	v_perm_b32 v238, v57, v56, s52                             // 000000009960: D1ED00EE 00D27139
	v_cmp_u_f32_e64 s[48:49], v254, v254                       // 000000009968: D0480030 0003FDFE
	v_add3_u32 v52, v254, v55, 1                               // 000000009970: D1FF0034 02066FFE
	v_cndmask_b32_e64 v56, v52, v54, s[48:49]                  // 000000009978: D1000038 00C26D34
	v_cmp_u_f32_e64 s[48:49], v255, v255                       // 000000009980: D0480030 0003FFFF
	v_add3_u32 v52, v255, v55, 1                               // 000000009988: D1FF0034 02066FFF
	v_cndmask_b32_e64 v57, v52, v54, s[48:49]                  // 000000009990: D1000039 00C26D34
	v_perm_b32 v239, v57, v56, s52                             // 000000009998: D1ED00EF 00D27139
	s_cmp_ge_u32 s80, 0x200                                    // 0000000099A0: BF09FF50 00000200
	s_cselect_b32 s59, 0x200, s59                              // 0000000099A8: 853B3BFF 00000200
	s_mov_b64 exec, s[20:21]                                   // 0000000099B0: BEFE0114
	global_atomic_pk_add_bf16 v80, v64, s[8:9]                 // 0000000099B4: DD488000 00084050
	s_mov_b64 exec, s[36:37]                                   // 0000000099BC: BEFE0124
	s_mov_b64 exec, s[20:21]                                   // 0000000099C0: BEFE0114
	global_atomic_pk_add_bf16 v80, v65, s[8:9] offset:256      // 0000000099C4: DD488100 00084150
	s_mov_b64 exec, s[36:37]                                   // 0000000099CC: BEFE0124
	s_mov_b64 exec, s[22:23]                                   // 0000000099D0: BEFE0116
	global_atomic_pk_add_bf16 v82, v66, s[8:9]                 // 0000000099D4: DD488000 00084252
	s_mov_b64 exec, s[36:37]                                   // 0000000099DC: BEFE0124
	s_mov_b64 exec, s[22:23]                                   // 0000000099E0: BEFE0116
	global_atomic_pk_add_bf16 v82, v67, s[8:9] offset:256      // 0000000099E4: DD488100 00084352
	s_mov_b64 exec, s[36:37]                                   // 0000000099EC: BEFE0124
	s_mov_b64 exec, s[24:25]                                   // 0000000099F0: BEFE0118
	global_atomic_pk_add_bf16 v84, v68, s[8:9]                 // 0000000099F4: DD488000 00084454
	s_mov_b64 exec, s[36:37]                                   // 0000000099FC: BEFE0124
	s_mov_b64 exec, s[24:25]                                   // 000000009A00: BEFE0118
	global_atomic_pk_add_bf16 v84, v69, s[8:9] offset:256      // 000000009A04: DD488100 00084554
	s_mov_b64 exec, s[36:37]                                   // 000000009A0C: BEFE0124
	s_mov_b64 exec, s[26:27]                                   // 000000009A10: BEFE011A
	global_atomic_pk_add_bf16 v86, v70, s[8:9]                 // 000000009A14: DD488000 00084656
	s_mov_b64 exec, s[36:37]                                   // 000000009A1C: BEFE0124
	s_mov_b64 exec, s[26:27]                                   // 000000009A20: BEFE011A
	global_atomic_pk_add_bf16 v86, v71, s[8:9] offset:256      // 000000009A24: DD488100 00084756
	s_mov_b64 exec, s[36:37]                                   // 000000009A2C: BEFE0124
	s_mov_b64 exec, s[28:29]                                   // 000000009A30: BEFE011C
	global_atomic_pk_add_bf16 v88, v72, s[8:9]                 // 000000009A34: DD488000 00084858
	s_mov_b64 exec, s[36:37]                                   // 000000009A3C: BEFE0124
	s_mov_b64 exec, s[28:29]                                   // 000000009A40: BEFE011C
	global_atomic_pk_add_bf16 v88, v73, s[8:9] offset:256      // 000000009A44: DD488100 00084958
	s_mov_b64 exec, s[36:37]                                   // 000000009A4C: BEFE0124
	s_mov_b64 exec, s[30:31]                                   // 000000009A50: BEFE011E
	global_atomic_pk_add_bf16 v90, v74, s[8:9]                 // 000000009A54: DD488000 00084A5A
	s_mov_b64 exec, s[36:37]                                   // 000000009A5C: BEFE0124
	s_mov_b64 exec, s[30:31]                                   // 000000009A60: BEFE011E
	global_atomic_pk_add_bf16 v90, v75, s[8:9] offset:256      // 000000009A64: DD488100 00084B5A
	s_mov_b64 exec, s[36:37]                                   // 000000009A6C: BEFE0124
	s_mov_b64 exec, s[32:33]                                   // 000000009A70: BEFE0120
	global_atomic_pk_add_bf16 v92, v76, s[8:9]                 // 000000009A74: DD488000 00084C5C
	s_mov_b64 exec, s[36:37]                                   // 000000009A7C: BEFE0124
	s_mov_b64 exec, s[32:33]                                   // 000000009A80: BEFE0120
	global_atomic_pk_add_bf16 v92, v77, s[8:9] offset:256      // 000000009A84: DD488100 00084D5C
	s_mov_b64 exec, s[36:37]                                   // 000000009A8C: BEFE0124
	s_mov_b64 exec, s[34:35]                                   // 000000009A90: BEFE0122
	global_atomic_pk_add_bf16 v94, v78, s[8:9]                 // 000000009A94: DD488000 00084E5E
	s_mov_b64 exec, s[36:37]                                   // 000000009A9C: BEFE0124
	s_mov_b64 exec, s[34:35]                                   // 000000009AA0: BEFE0122
	global_atomic_pk_add_bf16 v94, v79, s[8:9] offset:256      // 000000009AA4: DD488100 00084F5E
	s_mov_b64 exec, s[36:37]                                   // 000000009AAC: BEFE0124
	s_add_u32 s8, s59, s8                                      // 000000009AB0: 8008083B
	s_addc_u32 s9, 0, s9                                       // 000000009AB4: 82090980
	s_addk_i32 s80, 0x100                                      // 000000009AB8: B7500100
	s_cmp_lt_i32 s80, s81                                      // 000000009ABC: BF045150
	s_cbranch_scc0 label_0F4A                                  // 000000009AC0: BF84F359
	s_branch label_16D9                                        // 000000009AC4: BF82FAE7

0000000000009ac8 <label_1BF2>:
	s_cmp_ge_u32 s59, 0                                        // 000000009AC8: BF09803B
	s_cselect_b32 s59, 0x200, s59                              // 000000009ACC: 853B3BFF 00000200
	s_waitcnt lgkmcnt(0)                                       // 000000009AD4: BF8CC07F
	s_barrier                                                  // 000000009AD8: BF8A0000
	s_cmp_eq_u32 s64, 0x100                                    // 000000009ADC: BF06FF40 00000100
	s_cbranch_scc0 label_1C6E                                  // 000000009AE4: BF840074
	ds_write_b64 v4, v[192:193] offset:20736                   // 000000009AE8: D89A5100 0000C004
	ds_write_b64 v4, v[194:195] offset:29440                   // 000000009AF0: D89A7300 0000C204
	ds_write_b64 v4, v[196:197] offset:22912                   // 000000009AF8: D89A5980 0000C404
	ds_write_b64 v4, v[198:199] offset:31616                   // 000000009B00: D89A7B80 0000C604
	ds_write_b64 v4, v[200:201] offset:25088                   // 000000009B08: D89A6200 0000C804
	ds_write_b64 v4, v[202:203] offset:33792                   // 000000009B10: D89A8400 0000CA04
	ds_write_b64 v4, v[204:205] offset:27264                   // 000000009B18: D89A6A80 0000CC04
	ds_write_b64 v4, v[206:207] offset:35968                   // 000000009B20: D89A8C80 0000CE04
	s_waitcnt lgkmcnt(0)                                       // 000000009B28: BF8CC07F
	s_barrier                                                  // 000000009B2C: BF8A0000
	ds_read_b32 v64, v5 offset:20736                           // 000000009B30: D86C5100 40000005
	ds_read_b32 v65, v5 offset:25088                           // 000000009B38: D86C6200 41000005
	ds_read_b32 v66, v5 offset:20768                           // 000000009B40: D86C5120 42000005
	ds_read_b32 v67, v5 offset:25120                           // 000000009B48: D86C6220 43000005
	ds_read_b32 v68, v5 offset:20800                           // 000000009B50: D86C5140 44000005
	ds_read_b32 v69, v5 offset:25152                           // 000000009B58: D86C6240 45000005
	ds_read_b32 v70, v5 offset:20832                           // 000000009B60: D86C5160 46000005
	ds_read_b32 v71, v5 offset:25184                           // 000000009B68: D86C6260 47000005
	ds_read_b32 v72, v5 offset:29440                           // 000000009B70: D86C7300 48000005
	ds_read_b32 v73, v5 offset:33792                           // 000000009B78: D86C8400 49000005
	ds_read_b32 v74, v5 offset:29472                           // 000000009B80: D86C7320 4A000005
	ds_read_b32 v75, v5 offset:33824                           // 000000009B88: D86C8420 4B000005
	ds_read_b32 v76, v5 offset:29504                           // 000000009B90: D86C7340 4C000005
	ds_read_b32 v77, v5 offset:33856                           // 000000009B98: D86C8440 4D000005
	ds_read_b32 v78, v5 offset:29536                           // 000000009BA0: D86C7360 4E000005
	ds_read_b32 v79, v5 offset:33888                           // 000000009BA8: D86C8460 4F000005
	s_waitcnt lgkmcnt(0)                                       // 000000009BB0: BF8CC07F
	s_mov_b64 exec, s[20:21]                                   // 000000009BB4: BEFE0114
	global_atomic_pk_add_bf16 v80, v64, s[8:9]                 // 000000009BB8: DD488000 00084050
	s_mov_b64 exec, s[36:37]                                   // 000000009BC0: BEFE0124
	s_mov_b64 exec, s[20:21]                                   // 000000009BC4: BEFE0114
	global_atomic_pk_add_bf16 v80, v65, s[8:9] offset:256      // 000000009BC8: DD488100 00084150
	s_mov_b64 exec, s[36:37]                                   // 000000009BD0: BEFE0124
	s_mov_b64 exec, s[22:23]                                   // 000000009BD4: BEFE0116
	global_atomic_pk_add_bf16 v82, v66, s[8:9]                 // 000000009BD8: DD488000 00084252
	s_mov_b64 exec, s[36:37]                                   // 000000009BE0: BEFE0124
	s_mov_b64 exec, s[22:23]                                   // 000000009BE4: BEFE0116
	global_atomic_pk_add_bf16 v82, v67, s[8:9] offset:256      // 000000009BE8: DD488100 00084352
	s_mov_b64 exec, s[36:37]                                   // 000000009BF0: BEFE0124
	s_mov_b64 exec, s[24:25]                                   // 000000009BF4: BEFE0118
	global_atomic_pk_add_bf16 v84, v68, s[8:9]                 // 000000009BF8: DD488000 00084454
	s_mov_b64 exec, s[36:37]                                   // 000000009C00: BEFE0124
	s_mov_b64 exec, s[24:25]                                   // 000000009C04: BEFE0118
	global_atomic_pk_add_bf16 v84, v69, s[8:9] offset:256      // 000000009C08: DD488100 00084554
	s_mov_b64 exec, s[36:37]                                   // 000000009C10: BEFE0124
	s_mov_b64 exec, s[26:27]                                   // 000000009C14: BEFE011A
	global_atomic_pk_add_bf16 v86, v70, s[8:9]                 // 000000009C18: DD488000 00084656
	s_mov_b64 exec, s[36:37]                                   // 000000009C20: BEFE0124
	s_mov_b64 exec, s[26:27]                                   // 000000009C24: BEFE011A
	global_atomic_pk_add_bf16 v86, v71, s[8:9] offset:256      // 000000009C28: DD488100 00084756
	s_mov_b64 exec, s[36:37]                                   // 000000009C30: BEFE0124
	s_mov_b64 exec, s[28:29]                                   // 000000009C34: BEFE011C
	global_atomic_pk_add_bf16 v88, v72, s[8:9]                 // 000000009C38: DD488000 00084858
	s_mov_b64 exec, s[36:37]                                   // 000000009C40: BEFE0124
	s_mov_b64 exec, s[28:29]                                   // 000000009C44: BEFE011C
	global_atomic_pk_add_bf16 v88, v73, s[8:9] offset:256      // 000000009C48: DD488100 00084958
	s_mov_b64 exec, s[36:37]                                   // 000000009C50: BEFE0124
	s_mov_b64 exec, s[30:31]                                   // 000000009C54: BEFE011E
	global_atomic_pk_add_bf16 v90, v74, s[8:9]                 // 000000009C58: DD488000 00084A5A
	s_mov_b64 exec, s[36:37]                                   // 000000009C60: BEFE0124
	s_mov_b64 exec, s[30:31]                                   // 000000009C64: BEFE011E
	global_atomic_pk_add_bf16 v90, v75, s[8:9] offset:256      // 000000009C68: DD488100 00084B5A
	s_mov_b64 exec, s[36:37]                                   // 000000009C70: BEFE0124
	s_mov_b64 exec, s[32:33]                                   // 000000009C74: BEFE0120
	global_atomic_pk_add_bf16 v92, v76, s[8:9]                 // 000000009C78: DD488000 00084C5C
	s_mov_b64 exec, s[36:37]                                   // 000000009C80: BEFE0124
	s_mov_b64 exec, s[32:33]                                   // 000000009C84: BEFE0120
	global_atomic_pk_add_bf16 v92, v77, s[8:9] offset:256      // 000000009C88: DD488100 00084D5C
	s_mov_b64 exec, s[36:37]                                   // 000000009C90: BEFE0124
	s_mov_b64 exec, s[34:35]                                   // 000000009C94: BEFE0122
	global_atomic_pk_add_bf16 v94, v78, s[8:9]                 // 000000009C98: DD488000 00084E5E
	s_mov_b64 exec, s[36:37]                                   // 000000009CA0: BEFE0124
	s_mov_b64 exec, s[34:35]                                   // 000000009CA4: BEFE0122
	global_atomic_pk_add_bf16 v94, v79, s[8:9] offset:256      // 000000009CA8: DD488100 00084F5E
	s_mov_b64 exec, s[36:37]                                   // 000000009CB0: BEFE0124
	s_branch label_1D44                                        // 000000009CB4: BF8200D6

0000000000009cb8 <label_1C6E>:
	ds_read_b32 v64, v5 offset:20736                           // 000000009CB8: D86C5100 40000005
	ds_read_b32 v65, v5 offset:25088                           // 000000009CC0: D86C6200 41000005
	ds_read_b32 v66, v5 offset:20768                           // 000000009CC8: D86C5120 42000005
	ds_read_b32 v67, v5 offset:25120                           // 000000009CD0: D86C6220 43000005
	ds_read_b32 v68, v5 offset:20800                           // 000000009CD8: D86C5140 44000005
	ds_read_b32 v69, v5 offset:25152                           // 000000009CE0: D86C6240 45000005
	ds_read_b32 v70, v5 offset:20832                           // 000000009CE8: D86C5160 46000005
	ds_read_b32 v71, v5 offset:25184                           // 000000009CF0: D86C6260 47000005
	ds_read_b32 v72, v5 offset:29440                           // 000000009CF8: D86C7300 48000005
	ds_read_b32 v73, v5 offset:33792                           // 000000009D00: D86C8400 49000005
	ds_read_b32 v74, v5 offset:29472                           // 000000009D08: D86C7320 4A000005
	ds_read_b32 v75, v5 offset:33824                           // 000000009D10: D86C8420 4B000005
	ds_read_b32 v76, v5 offset:29504                           // 000000009D18: D86C7340 4C000005
	ds_read_b32 v77, v5 offset:33856                           // 000000009D20: D86C8440 4D000005
	ds_read_b32 v78, v5 offset:29536                           // 000000009D28: D86C7360 4E000005
	ds_read_b32 v79, v5 offset:33888                           // 000000009D30: D86C8460 4F000005
	s_waitcnt lgkmcnt(0)                                       // 000000009D38: BF8CC07F
	s_mov_b64 exec, s[20:21]                                   // 000000009D3C: BEFE0114
	global_atomic_pk_add_bf16 v80, v64, s[8:9]                 // 000000009D40: DD488000 00084050
	s_mov_b64 exec, s[36:37]                                   // 000000009D48: BEFE0124
	s_mov_b64 exec, s[20:21]                                   // 000000009D4C: BEFE0114
	global_atomic_pk_add_bf16 v80, v65, s[8:9] offset:256      // 000000009D50: DD488100 00084150
	s_mov_b64 exec, s[36:37]                                   // 000000009D58: BEFE0124
	s_mov_b64 exec, s[22:23]                                   // 000000009D5C: BEFE0116
	global_atomic_pk_add_bf16 v82, v66, s[8:9]                 // 000000009D60: DD488000 00084252
	s_mov_b64 exec, s[36:37]                                   // 000000009D68: BEFE0124
	s_mov_b64 exec, s[22:23]                                   // 000000009D6C: BEFE0116
	global_atomic_pk_add_bf16 v82, v67, s[8:9] offset:256      // 000000009D70: DD488100 00084352
	s_mov_b64 exec, s[36:37]                                   // 000000009D78: BEFE0124
	s_mov_b64 exec, s[24:25]                                   // 000000009D7C: BEFE0118
	global_atomic_pk_add_bf16 v84, v68, s[8:9]                 // 000000009D80: DD488000 00084454
	s_mov_b64 exec, s[36:37]                                   // 000000009D88: BEFE0124
	s_mov_b64 exec, s[24:25]                                   // 000000009D8C: BEFE0118
	global_atomic_pk_add_bf16 v84, v69, s[8:9] offset:256      // 000000009D90: DD488100 00084554
	s_mov_b64 exec, s[36:37]                                   // 000000009D98: BEFE0124
	s_mov_b64 exec, s[26:27]                                   // 000000009D9C: BEFE011A
	global_atomic_pk_add_bf16 v86, v70, s[8:9]                 // 000000009DA0: DD488000 00084656
	s_mov_b64 exec, s[36:37]                                   // 000000009DA8: BEFE0124
	s_mov_b64 exec, s[26:27]                                   // 000000009DAC: BEFE011A
	global_atomic_pk_add_bf16 v86, v71, s[8:9] offset:256      // 000000009DB0: DD488100 00084756
	s_mov_b64 exec, s[36:37]                                   // 000000009DB8: BEFE0124
	s_mov_b64 exec, s[28:29]                                   // 000000009DBC: BEFE011C
	global_atomic_pk_add_bf16 v88, v72, s[8:9]                 // 000000009DC0: DD488000 00084858
	s_mov_b64 exec, s[36:37]                                   // 000000009DC8: BEFE0124
	s_mov_b64 exec, s[28:29]                                   // 000000009DCC: BEFE011C
	global_atomic_pk_add_bf16 v88, v73, s[8:9] offset:256      // 000000009DD0: DD488100 00084958
	s_mov_b64 exec, s[36:37]                                   // 000000009DD8: BEFE0124
	s_mov_b64 exec, s[30:31]                                   // 000000009DDC: BEFE011E
	global_atomic_pk_add_bf16 v90, v74, s[8:9]                 // 000000009DE0: DD488000 00084A5A
	s_mov_b64 exec, s[36:37]                                   // 000000009DE8: BEFE0124
	s_mov_b64 exec, s[30:31]                                   // 000000009DEC: BEFE011E
	global_atomic_pk_add_bf16 v90, v75, s[8:9] offset:256      // 000000009DF0: DD488100 00084B5A
	s_mov_b64 exec, s[36:37]                                   // 000000009DF8: BEFE0124
	s_mov_b64 exec, s[32:33]                                   // 000000009DFC: BEFE0120
	global_atomic_pk_add_bf16 v92, v76, s[8:9]                 // 000000009E00: DD488000 00084C5C
	s_mov_b64 exec, s[36:37]                                   // 000000009E08: BEFE0124
	s_mov_b64 exec, s[32:33]                                   // 000000009E0C: BEFE0120
	global_atomic_pk_add_bf16 v92, v77, s[8:9] offset:256      // 000000009E10: DD488100 00084D5C
	s_mov_b64 exec, s[36:37]                                   // 000000009E18: BEFE0124
	s_mov_b64 exec, s[34:35]                                   // 000000009E1C: BEFE0122
	global_atomic_pk_add_bf16 v94, v78, s[8:9]                 // 000000009E20: DD488000 00084E5E
	s_mov_b64 exec, s[36:37]                                   // 000000009E28: BEFE0124
	s_mov_b64 exec, s[34:35]                                   // 000000009E2C: BEFE0122
	global_atomic_pk_add_bf16 v94, v79, s[8:9] offset:256      // 000000009E30: DD488100 00084F5E
	s_mov_b64 exec, s[36:37]                                   // 000000009E38: BEFE0124
	s_add_u32 s8, s59, s8                                      // 000000009E3C: 8008083B
	s_addc_u32 s9, 0, s9                                       // 000000009E40: 82090980
	ds_write_b64 v4, v[224:225] offset:38144                   // 000000009E44: D89A9500 0000E004
	ds_write_b64 v4, v[226:227] offset:46848                   // 000000009E4C: D89AB700 0000E204
	ds_write_b64 v4, v[228:229] offset:40320                   // 000000009E54: D89A9D80 0000E404
	ds_write_b64 v4, v[230:231] offset:49024                   // 000000009E5C: D89ABF80 0000E604
	ds_write_b64 v4, v[232:233] offset:42496                   // 000000009E64: D89AA600 0000E804
	ds_write_b64 v4, v[234:235] offset:51200                   // 000000009E6C: D89AC800 0000EA04
	ds_write_b64 v4, v[236:237] offset:44672                   // 000000009E74: D89AAE80 0000EC04
	ds_write_b64 v4, v[238:239] offset:53376                   // 000000009E7C: D89AD080 0000EE04
	s_waitcnt lgkmcnt(0)                                       // 000000009E84: BF8CC07F
	s_barrier                                                  // 000000009E88: BF8A0000
	ds_read_b32 v64, v5 offset:38144                           // 000000009E8C: D86C9500 40000005
	ds_read_b32 v65, v5 offset:42496                           // 000000009E94: D86CA600 41000005
	ds_read_b32 v66, v5 offset:38176                           // 000000009E9C: D86C9520 42000005
	ds_read_b32 v67, v5 offset:42528                           // 000000009EA4: D86CA620 43000005
	ds_read_b32 v68, v5 offset:38208                           // 000000009EAC: D86C9540 44000005
	ds_read_b32 v69, v5 offset:42560                           // 000000009EB4: D86CA640 45000005
	ds_read_b32 v70, v5 offset:38240                           // 000000009EBC: D86C9560 46000005
	ds_read_b32 v71, v5 offset:42592                           // 000000009EC4: D86CA660 47000005
	ds_read_b32 v72, v5 offset:46848                           // 000000009ECC: D86CB700 48000005
	ds_read_b32 v73, v5 offset:51200                           // 000000009ED4: D86CC800 49000005
	ds_read_b32 v74, v5 offset:46880                           // 000000009EDC: D86CB720 4A000005
	ds_read_b32 v75, v5 offset:51232                           // 000000009EE4: D86CC820 4B000005
	ds_read_b32 v76, v5 offset:46912                           // 000000009EEC: D86CB740 4C000005
	ds_read_b32 v77, v5 offset:51264                           // 000000009EF4: D86CC840 4D000005
	ds_read_b32 v78, v5 offset:46944                           // 000000009EFC: D86CB760 4E000005
	ds_read_b32 v79, v5 offset:51296                           // 000000009F04: D86CC860 4F000005
	s_waitcnt lgkmcnt(0)                                       // 000000009F0C: BF8CC07F
	s_mov_b64 exec, s[20:21]                                   // 000000009F10: BEFE0114
	global_atomic_pk_add_bf16 v80, v64, s[8:9]                 // 000000009F14: DD488000 00084050
	s_mov_b64 exec, s[36:37]                                   // 000000009F1C: BEFE0124
	s_mov_b64 exec, s[20:21]                                   // 000000009F20: BEFE0114
	global_atomic_pk_add_bf16 v80, v65, s[8:9] offset:256      // 000000009F24: DD488100 00084150
	s_mov_b64 exec, s[36:37]                                   // 000000009F2C: BEFE0124
	s_mov_b64 exec, s[22:23]                                   // 000000009F30: BEFE0116
	global_atomic_pk_add_bf16 v82, v66, s[8:9]                 // 000000009F34: DD488000 00084252
	s_mov_b64 exec, s[36:37]                                   // 000000009F3C: BEFE0124
	s_mov_b64 exec, s[22:23]                                   // 000000009F40: BEFE0116
	global_atomic_pk_add_bf16 v82, v67, s[8:9] offset:256      // 000000009F44: DD488100 00084352
	s_mov_b64 exec, s[36:37]                                   // 000000009F4C: BEFE0124
	s_mov_b64 exec, s[24:25]                                   // 000000009F50: BEFE0118
	global_atomic_pk_add_bf16 v84, v68, s[8:9]                 // 000000009F54: DD488000 00084454
	s_mov_b64 exec, s[36:37]                                   // 000000009F5C: BEFE0124
	s_mov_b64 exec, s[24:25]                                   // 000000009F60: BEFE0118
	global_atomic_pk_add_bf16 v84, v69, s[8:9] offset:256      // 000000009F64: DD488100 00084554
	s_mov_b64 exec, s[36:37]                                   // 000000009F6C: BEFE0124
	s_mov_b64 exec, s[26:27]                                   // 000000009F70: BEFE011A
	global_atomic_pk_add_bf16 v86, v70, s[8:9]                 // 000000009F74: DD488000 00084656
	s_mov_b64 exec, s[36:37]                                   // 000000009F7C: BEFE0124
	s_mov_b64 exec, s[26:27]                                   // 000000009F80: BEFE011A
	global_atomic_pk_add_bf16 v86, v71, s[8:9] offset:256      // 000000009F84: DD488100 00084756
	s_mov_b64 exec, s[36:37]                                   // 000000009F8C: BEFE0124
	s_mov_b64 exec, s[28:29]                                   // 000000009F90: BEFE011C
	global_atomic_pk_add_bf16 v88, v72, s[8:9]                 // 000000009F94: DD488000 00084858
	s_mov_b64 exec, s[36:37]                                   // 000000009F9C: BEFE0124
	s_mov_b64 exec, s[28:29]                                   // 000000009FA0: BEFE011C
	global_atomic_pk_add_bf16 v88, v73, s[8:9] offset:256      // 000000009FA4: DD488100 00084958
	s_mov_b64 exec, s[36:37]                                   // 000000009FAC: BEFE0124
	s_mov_b64 exec, s[30:31]                                   // 000000009FB0: BEFE011E
	global_atomic_pk_add_bf16 v90, v74, s[8:9]                 // 000000009FB4: DD488000 00084A5A
	s_mov_b64 exec, s[36:37]                                   // 000000009FBC: BEFE0124
	s_mov_b64 exec, s[30:31]                                   // 000000009FC0: BEFE011E
	global_atomic_pk_add_bf16 v90, v75, s[8:9] offset:256      // 000000009FC4: DD488100 00084B5A
	s_mov_b64 exec, s[36:37]                                   // 000000009FCC: BEFE0124
	s_mov_b64 exec, s[32:33]                                   // 000000009FD0: BEFE0120
	global_atomic_pk_add_bf16 v92, v76, s[8:9]                 // 000000009FD4: DD488000 00084C5C
	s_mov_b64 exec, s[36:37]                                   // 000000009FDC: BEFE0124
	s_mov_b64 exec, s[32:33]                                   // 000000009FE0: BEFE0120
	global_atomic_pk_add_bf16 v92, v77, s[8:9] offset:256      // 000000009FE4: DD488100 00084D5C
	s_mov_b64 exec, s[36:37]                                   // 000000009FEC: BEFE0124
	s_mov_b64 exec, s[34:35]                                   // 000000009FF0: BEFE0122
	global_atomic_pk_add_bf16 v94, v78, s[8:9]                 // 000000009FF4: DD488000 00084E5E
	s_mov_b64 exec, s[36:37]                                   // 000000009FFC: BEFE0124
	s_mov_b64 exec, s[34:35]                                   // 00000000A000: BEFE0122
	global_atomic_pk_add_bf16 v94, v79, s[8:9] offset:256      // 00000000A004: DD488100 00084F5E
	s_mov_b64 exec, s[36:37]                                   // 00000000A00C: BEFE0124

000000000000a010 <label_1D44>:
	s_waitcnt vmcnt(0) expcnt(0) lgkmcnt(0)                    // 00000000A010: BF8C0000
	s_endpgm                                                   // 00000000A014: BF810000
